;; amdgpu-corpus repo=ROCm/rocFFT kind=compiled arch=gfx950 opt=O3
	.text
	.amdgcn_target "amdgcn-amd-amdhsa--gfx950"
	.amdhsa_code_object_version 6
	.protected	bluestein_single_fwd_len1280_dim1_sp_op_CI_CI ; -- Begin function bluestein_single_fwd_len1280_dim1_sp_op_CI_CI
	.globl	bluestein_single_fwd_len1280_dim1_sp_op_CI_CI
	.p2align	8
	.type	bluestein_single_fwd_len1280_dim1_sp_op_CI_CI,@function
bluestein_single_fwd_len1280_dim1_sp_op_CI_CI: ; @bluestein_single_fwd_len1280_dim1_sp_op_CI_CI
; %bb.0:
	s_load_dwordx4 s[12:15], s[0:1], 0x28
	v_mul_u32_u24_e32 v1, 0x334, v0
	v_add_u32_sdwa v90, s2, v1 dst_sel:DWORD dst_unused:UNUSED_PAD src0_sel:DWORD src1_sel:WORD_1
	v_mov_b32_e32 v91, 0
	s_waitcnt lgkmcnt(0)
	v_cmp_gt_u64_e32 vcc, s[12:13], v[90:91]
	s_and_saveexec_b64 s[2:3], vcc
	s_cbranch_execz .LBB0_10
; %bb.1:
	s_load_dwordx4 s[4:7], s[0:1], 0x18
	s_load_dwordx4 s[8:11], s[0:1], 0x0
	v_mov_b32_e32 v2, s14
	v_mov_b32_e32 v3, s15
	s_movk_i32 s2, 0x50
	s_waitcnt lgkmcnt(0)
	s_load_dwordx4 s[12:15], s[4:5], 0x0
	v_mul_lo_u16_sdwa v1, v1, s2 dst_sel:DWORD dst_unused:UNUSED_PAD src0_sel:WORD_1 src1_sel:DWORD
	v_sub_u16_e32 v94, v0, v1
	v_mov_b32_e32 v34, 0x280
	v_lshlrev_b32_e32 v86, 3, v94
	s_waitcnt lgkmcnt(0)
	v_mad_u64_u32 v[0:1], s[2:3], s14, v90, 0
	v_mov_b32_e32 v4, v1
	v_mad_u64_u32 v[4:5], s[2:3], s15, v90, v[4:5]
	v_mov_b32_e32 v1, v4
	v_mad_u64_u32 v[4:5], s[2:3], s12, v94, 0
	v_mov_b32_e32 v6, v5
	v_mad_u64_u32 v[6:7], s[2:3], s13, v94, v[6:7]
	v_mov_b32_e32 v5, v6
	v_lshl_add_u64 v[8:9], v[0:1], 3, v[2:3]
	v_lshl_add_u64 v[4:5], v[4:5], 3, v[8:9]
	v_mad_u64_u32 v[10:11], s[2:3], s12, v34, v[4:5]
	s_mul_i32 s2, s13, 0x280
	s_nop 0
	v_add_u32_e32 v11, s2, v11
	v_mad_u64_u32 v[12:13], s[4:5], s12, v34, v[10:11]
	v_add_u32_e32 v13, s2, v13
	v_mad_u64_u32 v[14:15], s[4:5], s12, v34, v[12:13]
	;; [unrolled: 2-line block ×3, first 2 shown]
	v_mov_b32_e32 v87, v91
	v_add_u32_e32 v17, s2, v17
	global_load_dwordx2 v[0:1], v[4:5], off
	v_lshl_add_u64 v[2:3], s[8:9], 0, v[86:87]
	global_load_dwordx2 v[114:115], v86, s[8:9]
	global_load_dwordx2 v[112:113], v86, s[8:9] offset:640
	global_load_dwordx2 v[108:109], v86, s[8:9] offset:1280
	;; [unrolled: 1-line block ×3, first 2 shown]
	global_load_dwordx2 v[18:19], v[10:11], off
	global_load_dwordx2 v[20:21], v[12:13], off
	;; [unrolled: 1-line block ×4, first 2 shown]
	v_mad_u64_u32 v[10:11], s[4:5], s12, v34, v[16:17]
	v_or_b32_e32 v87, 0x280, v94
	v_add_u32_e32 v11, s2, v11
	v_mad_u64_u32 v[24:25], s[4:5], s12, v87, 0
	global_load_dwordx2 v[12:13], v[10:11], off
	v_mad_u64_u32 v[10:11], s[4:5], s12, v34, v[10:11]
	v_mov_b32_e32 v26, v25
	v_add_u32_e32 v11, s2, v11
	v_mad_u64_u32 v[26:27], s[4:5], s13, v87, v[26:27]
	global_load_dwordx2 v[14:15], v[10:11], off
	global_load_dwordx2 v[110:111], v86, s[8:9] offset:2560
	global_load_dwordx2 v[104:105], v86, s[8:9] offset:3200
	;; [unrolled: 1-line block ×3, first 2 shown]
	v_mad_u64_u32 v[10:11], s[4:5], s12, v34, v[10:11]
	v_mov_b32_e32 v25, v26
	v_add_u32_e32 v11, s2, v11
	s_movk_i32 s3, 0x1000
	v_lshl_add_u64 v[8:9], v[24:25], 3, v[8:9]
	v_mov_b32_e32 v24, 0x500
	global_load_dwordx2 v[16:17], v[10:11], off
	v_add_co_u32_e32 v22, vcc, s3, v2
	v_mad_u64_u32 v[10:11], s[4:5], s12, v24, v[10:11]
	s_mul_i32 s3, s13, 0x500
	v_addc_co_u32_e32 v23, vcc, 0, v3, vcc
	v_add_u32_e32 v11, s3, v11
	global_load_dwordx2 v[96:97], v[22:23], off offset:384
	global_load_dwordx2 v[84:85], v[22:23], off offset:1664
	global_load_dwordx2 v[82:83], v[22:23], off offset:2304
	global_load_dwordx2 v[80:81], v[22:23], off offset:2944
	global_load_dwordx2 v[24:25], v[10:11], off
	v_mad_u64_u32 v[10:11], s[4:5], s12, v34, v[10:11]
	v_add_u32_e32 v11, s2, v11
	global_load_dwordx2 v[26:27], v[10:11], off
	v_mad_u64_u32 v[10:11], s[4:5], s12, v34, v[10:11]
	v_add_u32_e32 v11, s2, v11
	v_lshlrev_b32_e32 v61, 3, v87
	global_load_dwordx2 v[28:29], v[10:11], off
	v_mad_u64_u32 v[10:11], s[4:5], s12, v34, v[10:11]
	global_load_dwordx2 v[8:9], v[8:9], off
	v_add_u32_e32 v11, s2, v11
	global_load_dwordx2 v[116:117], v61, s[8:9]
	global_load_dwordx2 v[30:31], v[10:11], off
	global_load_dwordx2 v[102:103], v[22:23], off offset:3584
	v_mad_u64_u32 v[10:11], s[4:5], s12, v34, v[10:11]
	v_add_u32_e32 v11, s2, v11
	s_movk_i32 s3, 0x2000
	global_load_dwordx2 v[22:23], v[10:11], off
	v_add_co_u32_e32 v2, vcc, s3, v2
	v_mad_u64_u32 v[10:11], s[4:5], s12, v34, v[10:11]
	s_nop 0
	v_addc_co_u32_e32 v3, vcc, 0, v3, vcc
	v_add_u32_e32 v11, s2, v11
	global_load_dwordx2 v[106:107], v[2:3], off offset:128
	global_load_dwordx2 v[32:33], v[10:11], off
	global_load_dwordx2 v[100:101], v[2:3], off offset:768
	v_mad_u64_u32 v[10:11], s[4:5], s12, v34, v[10:11]
	v_add_u32_e32 v11, s2, v11
	global_load_dwordx2 v[34:35], v[10:11], off
	global_load_dwordx2 v[92:93], v[2:3], off offset:1408
	v_add_u32_e32 v50, 0x800, v86
	v_add_u32_e32 v10, 0xc00, v86
	;; [unrolled: 1-line block ×6, first 2 shown]
	s_load_dwordx4 s[4:7], s[6:7], 0x0
	s_mov_b32 s2, 0x3f3504f3
	s_mov_b32 s14, 0x3f6c835e
	s_mov_b32 s12, 0x3ec3ef15
	v_cmp_gt_u16_e32 vcc, 16, v94
	s_waitcnt vmcnt(30)
	v_mul_f32_e32 v2, v0, v115
	v_fma_f32 v3, v1, v114, -v2
	v_mul_f32_e32 v2, v1, v115
	v_fmac_f32_e32 v2, v0, v114
	s_waitcnt vmcnt(26)
	v_mul_f32_e32 v0, v18, v113
	v_fma_f32 v1, v19, v112, -v0
	v_mul_f32_e32 v0, v19, v113
	v_fmac_f32_e32 v0, v18, v112
	ds_write2_b64 v86, v[2:3], v[0:1] offset1:80
	s_waitcnt vmcnt(25)
	v_mul_f32_e32 v0, v21, v109
	v_mul_f32_e32 v1, v20, v109
	s_waitcnt vmcnt(24)
	v_mul_f32_e32 v2, v7, v99
	v_mul_f32_e32 v3, v6, v99
	v_fmac_f32_e32 v0, v20, v108
	v_fma_f32 v1, v21, v108, -v1
	v_fmac_f32_e32 v2, v6, v98
	v_fma_f32 v3, v7, v98, -v3
	ds_write2_b64 v86, v[0:1], v[2:3] offset0:160 offset1:240
	s_waitcnt vmcnt(20)
	v_mul_f32_e32 v0, v5, v111
	v_mul_f32_e32 v1, v4, v111
	s_waitcnt vmcnt(19)
	v_mul_f32_e32 v2, v13, v105
	v_mul_f32_e32 v3, v12, v105
	v_fmac_f32_e32 v0, v4, v110
	v_fma_f32 v1, v5, v110, -v1
	v_fmac_f32_e32 v2, v12, v104
	v_fma_f32 v3, v13, v104, -v3
	ds_write2_b64 v50, v[0:1], v[2:3] offset0:64 offset1:144
	s_waitcnt vmcnt(18)
	v_mul_f32_e32 v0, v15, v89
	v_mul_f32_e32 v1, v14, v89
	v_fmac_f32_e32 v0, v14, v88
	v_fma_f32 v1, v15, v88, -v1
	s_waitcnt vmcnt(16)
	v_mul_f32_e32 v2, v17, v97
	v_mul_f32_e32 v3, v16, v97
	v_fmac_f32_e32 v2, v16, v96
	v_fma_f32 v3, v17, v96, -v3
	ds_write2_b64 v10, v[0:1], v[2:3] offset0:96 offset1:176
	s_waitcnt vmcnt(12)
	v_mul_f32_e32 v2, v24, v85
	v_fma_f32 v3, v25, v84, -v2
	v_mul_f32_e32 v2, v25, v85
	v_fmac_f32_e32 v2, v24, v84
                                        ; implicit-def: $vgpr54
                                        ; implicit-def: $vgpr58
                                        ; implicit-def: $vgpr56
	s_waitcnt vmcnt(8)
	v_mul_f32_e32 v0, v8, v117
	v_fma_f32 v1, v9, v116, -v0
	v_mul_f32_e32 v0, v9, v117
	v_fmac_f32_e32 v0, v8, v116
	ds_write2_b64 v46, v[0:1], v[2:3] offset0:128 offset1:208
	v_mul_f32_e32 v0, v27, v83
	v_mul_f32_e32 v1, v26, v83
	;; [unrolled: 1-line block ×4, first 2 shown]
	v_fmac_f32_e32 v0, v26, v82
	v_fma_f32 v1, v27, v82, -v1
	v_fmac_f32_e32 v2, v28, v80
	v_fma_f32 v3, v29, v80, -v3
	ds_write2_b64 v51, v[0:1], v[2:3] offset0:32 offset1:112
	s_waitcnt vmcnt(6)
	v_mul_f32_e32 v0, v31, v103
	v_mul_f32_e32 v1, v30, v103
	s_waitcnt vmcnt(4)
	v_mul_f32_e32 v2, v23, v107
	v_mul_f32_e32 v3, v22, v107
	v_fmac_f32_e32 v0, v30, v102
	v_fma_f32 v1, v31, v102, -v1
	v_fmac_f32_e32 v2, v22, v106
	v_fma_f32 v3, v23, v106, -v3
	ds_write2_b64 v36, v[0:1], v[2:3] offset0:64 offset1:144
	s_waitcnt vmcnt(2)
	v_mul_f32_e32 v0, v33, v101
	v_mul_f32_e32 v1, v32, v101
	s_waitcnt vmcnt(0)
	v_mul_f32_e32 v2, v35, v93
	v_mul_f32_e32 v3, v34, v93
	v_fmac_f32_e32 v0, v32, v100
	v_fma_f32 v1, v33, v100, -v1
	v_fmac_f32_e32 v2, v34, v92
	v_fma_f32 v3, v35, v92, -v3
	ds_write2_b64 v52, v[0:1], v[2:3] offset0:96 offset1:176
	s_waitcnt lgkmcnt(0)
	s_barrier
	ds_read2_b64 v[0:3], v86 offset0:160 offset1:240
	ds_read2_b64 v[4:7], v51 offset0:32 offset1:112
	;; [unrolled: 1-line block ×4, first 2 shown]
	s_waitcnt lgkmcnt(2)
	v_pk_add_f32 v[16:17], v[0:1], v[4:5] neg_lo:[0,1] neg_hi:[0,1]
	v_pk_add_f32 v[18:19], v[2:3], v[6:7] neg_lo:[0,1] neg_hi:[0,1]
	s_waitcnt lgkmcnt(0)
	v_pk_add_f32 v[24:25], v[8:9], v[12:13] neg_lo:[0,1] neg_hi:[0,1]
	v_pk_add_f32 v[26:27], v[10:11], v[14:15] neg_lo:[0,1] neg_hi:[0,1]
	v_pk_fma_f32 v[20:21], v[0:1], 2.0, v[16:17] op_sel_hi:[1,0,1] neg_lo:[0,0,1] neg_hi:[0,0,1]
	v_pk_fma_f32 v[22:23], v[2:3], 2.0, v[18:19] op_sel_hi:[1,0,1] neg_lo:[0,0,1] neg_hi:[0,0,1]
	ds_read2_b64 v[0:3], v46 offset0:128 offset1:208
	ds_read2_b64 v[4:7], v86 offset1:80
	v_pk_fma_f32 v[28:29], v[8:9], 2.0, v[24:25] op_sel_hi:[1,0,1] neg_lo:[0,0,1] neg_hi:[0,0,1]
	v_pk_fma_f32 v[30:31], v[10:11], 2.0, v[26:27] op_sel_hi:[1,0,1] neg_lo:[0,0,1] neg_hi:[0,0,1]
	ds_read2_b64 v[8:11], v36 offset0:64 offset1:144
	ds_read2_b64 v[12:15], v50 offset0:64 offset1:144
	v_pk_add_f32 v[32:33], v[16:17], v[24:25] op_sel:[0,1] op_sel_hi:[1,0] neg_lo:[0,1] neg_hi:[0,1]
	v_pk_add_f32 v[24:25], v[16:17], v[24:25] op_sel:[0,1] op_sel_hi:[1,0]
	s_waitcnt lgkmcnt(2)
	v_pk_add_f32 v[2:3], v[6:7], v[2:3] neg_lo:[0,1] neg_hi:[0,1]
	v_mov_b32_e32 v33, v25
	s_waitcnt lgkmcnt(0)
	v_pk_add_f32 v[10:11], v[14:15], v[10:11] neg_lo:[0,1] neg_hi:[0,1]
	v_pk_add_f32 v[24:25], v[18:19], v[26:27] op_sel:[0,1] op_sel_hi:[1,0] neg_lo:[0,1] neg_hi:[0,1]
	v_pk_add_f32 v[26:27], v[18:19], v[26:27] op_sel:[0,1] op_sel_hi:[1,0]
	v_pk_fma_f32 v[14:15], v[14:15], 2.0, v[10:11] op_sel_hi:[1,0,1] neg_lo:[0,0,1] neg_hi:[0,0,1]
	v_mov_b32_e32 v25, v27
	v_pk_add_f32 v[26:27], v[2:3], v[10:11] op_sel:[0,1] op_sel_hi:[1,0] neg_lo:[0,1] neg_hi:[0,1]
	v_pk_add_f32 v[10:11], v[2:3], v[10:11] op_sel:[0,1] op_sel_hi:[1,0]
	v_pk_fma_f32 v[6:7], v[6:7], 2.0, v[2:3] op_sel_hi:[1,0,1] neg_lo:[0,0,1] neg_hi:[0,0,1]
	v_mov_b32_e32 v27, v11
	v_pk_fma_f32 v[2:3], v[2:3], 2.0, v[26:27] op_sel_hi:[1,0,1] neg_lo:[0,0,1] neg_hi:[0,0,1]
	v_pk_fma_f32 v[18:19], v[18:19], 2.0, v[24:25] op_sel_hi:[1,0,1] neg_lo:[0,0,1] neg_hi:[0,0,1]
	v_pk_add_f32 v[0:1], v[4:5], v[0:1] neg_lo:[0,1] neg_hi:[0,1]
	v_pk_add_f32 v[8:9], v[12:13], v[8:9] neg_lo:[0,1] neg_hi:[0,1]
	v_pk_mul_f32 v[34:35], v[18:19], s[2:3] op_sel_hi:[1,0]
	v_pk_fma_f32 v[18:19], v[18:19], s[2:3], v[2:3] op_sel_hi:[1,0,1] neg_lo:[1,0,0] neg_hi:[1,0,0]
	v_pk_fma_f32 v[12:13], v[12:13], 2.0, v[8:9] op_sel_hi:[1,0,1] neg_lo:[0,0,1] neg_hi:[0,0,1]
	v_pk_add_f32 v[36:37], v[18:19], v[34:35] op_sel:[0,1] op_sel_hi:[1,0] neg_lo:[0,1] neg_hi:[0,1]
	v_pk_add_f32 v[18:19], v[18:19], v[34:35] op_sel:[0,1] op_sel_hi:[1,0]
	v_pk_add_f32 v[34:35], v[0:1], v[8:9] op_sel:[0,1] op_sel_hi:[1,0] neg_lo:[0,1] neg_hi:[0,1]
	v_pk_add_f32 v[8:9], v[0:1], v[8:9] op_sel:[0,1] op_sel_hi:[1,0]
	v_pk_fma_f32 v[4:5], v[4:5], 2.0, v[0:1] op_sel_hi:[1,0,1] neg_lo:[0,0,1] neg_hi:[0,0,1]
	v_mov_b32_e32 v35, v9
	v_pk_fma_f32 v[16:17], v[16:17], 2.0, v[32:33] op_sel_hi:[1,0,1] neg_lo:[0,0,1] neg_hi:[0,0,1]
	v_pk_fma_f32 v[0:1], v[0:1], 2.0, v[34:35] op_sel_hi:[1,0,1] neg_lo:[0,0,1] neg_hi:[0,0,1]
	v_pk_mul_f32 v[38:39], v[16:17], s[2:3] op_sel_hi:[1,0]
	v_pk_fma_f32 v[16:17], v[16:17], s[2:3], v[0:1] op_sel_hi:[1,0,1] neg_lo:[1,0,0] neg_hi:[1,0,0]
	v_mov_b32_e32 v37, v19
	v_pk_add_f32 v[40:41], v[16:17], v[38:39] op_sel:[0,1] op_sel_hi:[1,0] neg_lo:[0,1] neg_hi:[0,1]
	v_pk_add_f32 v[16:17], v[16:17], v[38:39] op_sel:[0,1] op_sel_hi:[1,0]
	v_pk_add_f32 v[28:29], v[20:21], v[28:29] neg_lo:[0,1] neg_hi:[0,1]
	v_mov_b32_e32 v41, v17
	v_pk_add_f32 v[14:15], v[6:7], v[14:15] neg_lo:[0,1] neg_hi:[0,1]
	v_pk_add_f32 v[30:31], v[22:23], v[30:31] neg_lo:[0,1] neg_hi:[0,1]
	;; [unrolled: 1-line block ×3, first 2 shown]
	v_pk_fma_f32 v[2:3], v[2:3], 2.0, v[36:37] op_sel_hi:[1,0,1] neg_lo:[0,0,1] neg_hi:[0,0,1]
	v_pk_fma_f32 v[38:39], v[0:1], 2.0, v[40:41] op_sel_hi:[1,0,1] neg_lo:[0,0,1] neg_hi:[0,0,1]
	v_pk_fma_f32 v[20:21], v[20:21], 2.0, v[28:29] op_sel_hi:[1,0,1] neg_lo:[0,0,1] neg_hi:[0,0,1]
	v_pk_fma_f32 v[6:7], v[6:7], 2.0, v[14:15] op_sel_hi:[1,0,1] neg_lo:[0,0,1] neg_hi:[0,0,1]
	v_pk_fma_f32 v[22:23], v[22:23], 2.0, v[30:31] op_sel_hi:[1,0,1] neg_lo:[0,0,1] neg_hi:[0,0,1]
	v_pk_fma_f32 v[4:5], v[4:5], 2.0, v[12:13] op_sel_hi:[1,0,1] neg_lo:[0,0,1] neg_hi:[0,0,1]
	v_pk_mul_f32 v[42:43], v[2:3], s[12:13] op_sel_hi:[1,0]
	v_pk_fma_f32 v[44:45], v[2:3], s[14:15], v[38:39] op_sel_hi:[1,0,1] neg_lo:[1,0,0] neg_hi:[1,0,0]
	v_pk_add_f32 v[22:23], v[6:7], v[22:23] neg_lo:[0,1] neg_hi:[0,1]
	v_pk_add_f32 v[20:21], v[4:5], v[20:21] neg_lo:[0,1] neg_hi:[0,1]
	v_pk_add_f32 v[2:3], v[44:45], v[42:43] op_sel:[0,1] op_sel_hi:[1,0] neg_lo:[0,1] neg_hi:[0,1]
	v_pk_add_f32 v[42:43], v[44:45], v[42:43] op_sel:[0,1] op_sel_hi:[1,0]
	v_pk_fma_f32 v[6:7], v[6:7], 2.0, v[22:23] op_sel_hi:[1,0,1] neg_lo:[0,0,1] neg_hi:[0,0,1]
	v_pk_fma_f32 v[4:5], v[4:5], 2.0, v[20:21] op_sel_hi:[1,0,1] neg_lo:[0,0,1] neg_hi:[0,0,1]
	v_mov_b32_e32 v3, v43
	v_pk_add_f32 v[0:1], v[4:5], v[6:7] neg_lo:[0,1] neg_hi:[0,1]
	v_pk_fma_f32 v[6:7], v[38:39], 2.0, v[2:3] op_sel_hi:[1,0,1] neg_lo:[0,0,1] neg_hi:[0,0,1]
	v_lshlrev_b16_e32 v3, 4, v94
	v_lshlrev_b32_e32 v60, 3, v3
	v_mov_b32_e32 v3, v43
	v_pk_fma_f32 v[4:5], v[4:5], 2.0, v[0:1] op_sel_hi:[1,0,1] neg_lo:[0,0,1] neg_hi:[0,0,1]
	s_barrier
	ds_write_b128 v60, v[0:3] offset:64
	v_pk_mul_f32 v[0:1], v[24:25], s[2:3] op_sel_hi:[1,0]
	v_pk_fma_f32 v[2:3], v[24:25], s[2:3], v[26:27] op_sel_hi:[1,0,1]
	ds_write_b128 v60, v[4:7]
	v_pk_add_f32 v[24:25], v[2:3], v[0:1] op_sel:[0,1] op_sel_hi:[1,0] neg_lo:[0,1] neg_hi:[0,1]
	v_pk_add_f32 v[2:3], v[2:3], v[0:1] op_sel:[0,1] op_sel_hi:[1,0]
	v_pk_add_f32 v[6:7], v[14:15], v[30:31] op_sel:[0,1] op_sel_hi:[1,0]
	v_fma_f32 v18, v11, 2.0, -v3
	v_pk_add_f32 v[10:11], v[14:15], v[30:31] op_sel:[0,1] op_sel_hi:[1,0] neg_lo:[0,1] neg_hi:[0,1]
	v_fma_f32 v16, v26, 2.0, -v24
	v_mov_b32_e32 v11, v7
	v_pk_fma_f32 v[0:1], v[14:15], 2.0, v[10:11] op_sel_hi:[1,0,1] neg_lo:[0,0,1] neg_hi:[0,0,1]
	v_pk_add_f32 v[14:15], v[12:13], v[28:29] op_sel:[0,1] op_sel_hi:[1,0] neg_lo:[0,1] neg_hi:[0,1]
	v_pk_add_f32 v[26:27], v[12:13], v[28:29] op_sel:[0,1] op_sel_hi:[1,0]
	v_pk_mul_f32 v[38:39], v[32:33], s[2:3] op_sel_hi:[1,0]
	v_pk_fma_f32 v[32:33], v[32:33], s[2:3], v[34:35] op_sel_hi:[1,0,1]
	v_mov_b32_e32 v15, v27
	v_pk_add_f32 v[42:43], v[32:33], v[38:39] op_sel:[0,1] op_sel_hi:[1,0] neg_lo:[0,1] neg_hi:[0,1]
	v_pk_fma_f32 v[4:5], v[12:13], 2.0, v[14:15] op_sel_hi:[1,0,1] neg_lo:[0,0,1] neg_hi:[0,0,1]
	v_fma_f32 v8, v34, 2.0, -v42
	v_pk_mul_f32 v[12:13], v[0:1], s[2:3] op_sel_hi:[1,0]
	v_pk_fma_f32 v[0:1], v[0:1], s[2:3], v[4:5] op_sel_hi:[1,0,1] neg_lo:[1,0,0] neg_hi:[1,0,0]
	v_fmamk_f32 v2, v16, 0xbec3ef15, v8
	v_pk_add_f32 v[28:29], v[0:1], v[12:13] op_sel:[0,1] op_sel_hi:[1,0]
	v_pk_add_f32 v[0:1], v[0:1], v[12:13] op_sel:[0,1] op_sel_hi:[1,0] neg_lo:[0,1] neg_hi:[0,1]
	v_fmac_f32_e32 v2, 0xbf6c835e, v18
	v_mov_b32_e32 v1, v29
	v_pk_fma_f32 v[4:5], v[4:5], 2.0, v[0:1] op_sel_hi:[1,0,1] neg_lo:[0,0,1] neg_hi:[0,0,1]
	v_fma_f32 v6, v8, 2.0, -v2
	ds_write_b96 v60, v[4:6] offset:16
	ds_write_b96 v60, v[0:2] offset:80
	v_pk_add_f32 v[0:1], v[32:33], v[38:39] op_sel:[0,1] op_sel_hi:[1,0]
	v_mov_b32_e32 v13, v20
	v_mov_b32_e32 v0, v21
	v_pk_add_f32 v[4:5], v[0:1], v[22:23]
	v_pk_add_f32 v[22:23], v[12:13], v[22:23] neg_lo:[0,1] neg_hi:[0,1]
	v_fma_f32 v12, v9, 2.0, -v1
	v_fmamk_f32 v22, v18, 0xbec3ef15, v12
	v_fmac_f32_e32 v22, 0x3f6c835e, v16
	v_mov_b32_e32 v25, v3
	v_pk_fma_f32 v[2:3], v[12:13], 2.0, v[22:23] op_sel_hi:[1,0,1] neg_lo:[0,0,1] neg_hi:[0,0,1]
	v_fmamk_f32 v5, v36, 0x3ec3ef15, v40
	ds_write2_b32 v60, v2, v3 offset0:7 offset1:8
	v_mov_b32_e32 v2, v21
	v_mov_b32_e32 v3, v40
	v_fmac_f32_e32 v5, 0xbf6c835e, v19
	v_pk_fma_f32 v[2:3], v[2:3], 2.0, v[4:5] op_sel_hi:[1,0,1] neg_lo:[0,0,1] neg_hi:[0,0,1]
	v_mov_b32_e32 v43, v1
	ds_write2_b32 v60, v2, v3 offset0:9 offset1:10
	v_mov_b32_e32 v2, v19
	v_mov_b32_e32 v3, v10
	;; [unrolled: 1-line block ×3, first 2 shown]
	v_pk_fma_f32 v[6:7], v[24:25], s[14:15], v[42:43] op_sel_hi:[1,0,1]
	v_pk_mul_f32 v[8:9], v[24:25], s[12:13] op_sel_hi:[1,0]
	s_mov_b32 s13, s2
	s_mov_b32 s15, s2
	v_mov_b32_e32 v10, v17
	v_mov_b32_e32 v11, v14
	v_pk_fma_f32 v[12:13], v[36:37], s[14:15], v[14:15]
	v_pk_fma_f32 v[14:15], v[2:3], s[12:13], v[10:11]
	;; [unrolled: 1-line block ×4, first 2 shown]
	v_pk_fma_f32 v[14:15], v[36:37], s[14:15], v[14:15] neg_lo:[1,0,0] neg_hi:[1,0,0]
	v_pk_add_f32 v[16:17], v[6:7], v[8:9] op_sel:[0,1] op_sel_hi:[1,0] neg_lo:[0,1] neg_hi:[0,1]
	v_mov_b32_e32 v19, v15
	v_pk_fma_f32 v[10:11], v[10:11], 2.0, v[18:19] op_sel_hi:[1,0,1] neg_lo:[0,0,1] neg_hi:[0,0,1]
	ds_write2_b32 v60, v10, v11 offset0:11 offset1:12
	v_mov_b32_e32 v10, v27
	v_mov_b32_e32 v11, v42
	v_pk_add_f32 v[12:13], v[6:7], v[8:9] op_sel:[0,1] op_sel_hi:[1,0]
	v_mov_b32_e32 v6, v3
	v_mov_b32_e32 v7, v16
	v_pk_fma_f32 v[6:7], v[10:11], 2.0, v[6:7] op_sel_hi:[1,0,1] neg_lo:[0,0,1] neg_hi:[0,0,1]
	v_fma_f32 v0, v1, 2.0, -v13
	v_mov_b32_e32 v17, v13
	ds_write2_b32 v60, v6, v7 offset0:13 offset1:14
	ds_write2_b32 v60, v22, v23 offset0:23 offset1:24
	;; [unrolled: 1-line block ×5, first 2 shown]
	ds_write_b64 v60, v[16:17] offset:120
	s_waitcnt lgkmcnt(0)
	s_barrier
	v_add_u32_e32 v0, 0x400, v86
	v_add_u32_e32 v1, 0x1400, v86
	ds_read_b64 v[48:49], v86 offset:9472
	ds_read2_b64 v[20:23], v0 offset0:32 offset1:128
	ds_read2_b64 v[44:47], v46 offset1:80
	ds_read2_b64 v[28:31], v1 offset0:32 offset1:128
	ds_read2_b64 v[40:43], v52 offset1:80
	ds_read2_b64 v[32:35], v50 offset0:80 offset1:160
	ds_read2_b64 v[24:27], v51 offset0:80 offset1:160
	ds_read2_b64 v[36:39], v86 offset1:80
	s_load_dwordx2 s[2:3], s[0:1], 0x38
                                        ; implicit-def: $vgpr50
                                        ; implicit-def: $vgpr52
                                        ; implicit-def: $vgpr12
	s_and_saveexec_b64 s[0:1], vcc
	s_cbranch_execz .LBB0_3
; %bb.2:
	v_add_u32_e32 v0, 0x180, v86
	ds_read2st64_b64 v[16:19], v0 offset0:3 offset1:7
	ds_read2st64_b64 v[12:15], v0 offset0:11 offset1:15
	ds_read_b64 v[58:59], v86 offset:10112
	s_waitcnt lgkmcnt(0)
	v_mov_b32_e32 v50, v19
	v_mov_b32_e32 v52, v13
	;; [unrolled: 1-line block ×4, first 2 shown]
.LBB0_3:
	s_or_b64 exec, exec, s[0:1]
	v_lshlrev_b32_e32 v0, 5, v94
	v_and_b32_e32 v71, 15, v94
	v_and_b32_e32 v0, 0x1e0, v0
	v_lshlrev_b32_e32 v13, 5, v71
	global_load_dwordx4 v[4:7], v0, s[10:11]
	s_mov_b32 s12, 0x3f737871
	global_load_dwordx4 v[0:3], v0, s[10:11] offset:16
	s_nop 0
	global_load_dwordx4 v[8:11], v13, s[10:11] offset:12
	global_load_dword v118, v13, s[10:11] offset:28
	global_load_dwordx3 v[76:78], v13, s[10:11]
	v_lshrrev_b32_e32 v13, 4, v94
	v_mul_u32_u24_e32 v13, 0x50, v13
	v_or_b32_e32 v13, v13, v71
	v_lshlrev_b32_e32 v91, 3, v13
	s_mov_b32 s14, 0x3f167918
	s_mov_b32 s0, 0x3e9e377a
	s_waitcnt lgkmcnt(0)
	s_barrier
	s_waitcnt vmcnt(4)
	v_pk_mul_f32 v[62:63], v[50:51], v[4:5] op_sel_hi:[0,1]
	s_waitcnt vmcnt(2)
	v_mov_b32_e32 v70, v9
	v_pk_mul_f32 v[72:73], v[30:31], v[10:11] op_sel_hi:[1,0]
	s_waitcnt vmcnt(0)
	v_mov_b32_e32 v79, v78
	v_pk_mul_f32 v[64:65], v[52:53], v[6:7] op_sel_hi:[0,1]
	v_pk_mul_f32 v[66:67], v[54:55], v[0:1] op_sel_hi:[0,1]
	;; [unrolled: 1-line block ×3, first 2 shown]
	v_mov_b32_e32 v78, v77
	v_pk_fma_f32 v[50:51], v[18:19], v[4:5], v[62:63] op_sel:[0,0,1] op_sel_hi:[1,1,0] neg_lo:[0,0,1] neg_hi:[0,0,1]
	v_pk_fma_f32 v[18:19], v[18:19], v[4:5], v[62:63] op_sel:[0,0,1] op_sel_hi:[0,1,0]
	v_pk_fma_f32 v[62:63], v[30:31], v[70:71], v[72:73] op_sel:[0,0,1] op_sel_hi:[1,1,0] neg_lo:[0,0,1] neg_hi:[0,0,1]
	v_pk_fma_f32 v[30:31], v[30:31], v[8:9], v[72:73] op_sel:[0,1,1] op_sel_hi:[1,1,0]
	v_mov_b32_e32 v74, v11
	v_pk_mul_f32 v[120:121], v[40:41], v[118:119] op_sel_hi:[1,0]
	v_pk_mul_f32 v[122:123], v[44:45], v[8:9] op_sel_hi:[1,0]
	v_pk_fma_f32 v[52:53], v[12:13], v[6:7], v[64:65] op_sel:[0,0,1] op_sel_hi:[1,1,0] neg_lo:[0,0,1] neg_hi:[0,0,1]
	v_pk_fma_f32 v[12:13], v[12:13], v[6:7], v[64:65] op_sel:[0,0,1] op_sel_hi:[0,1,0]
	v_pk_fma_f32 v[54:55], v[14:15], v[0:1], v[66:67] op_sel:[0,0,1] op_sel_hi:[1,1,0] neg_lo:[0,0,1] neg_hi:[0,0,1]
	v_pk_fma_f32 v[14:15], v[14:15], v[0:1], v[66:67] op_sel:[0,0,1] op_sel_hi:[0,1,0]
	;; [unrolled: 2-line block ×3, first 2 shown]
	v_pk_mul_f32 v[66:67], v[22:23], v[78:79] op_sel_hi:[1,0]
	v_mov_b32_e32 v30, v79
	v_pk_fma_f32 v[64:65], v[40:41], v[74:75], v[120:121] op_sel:[0,0,1] op_sel_hi:[1,1,0] neg_lo:[0,0,1] neg_hi:[0,0,1]
	v_pk_fma_f32 v[40:41], v[40:41], v[10:11], v[120:121] op_sel:[0,1,1] op_sel_hi:[1,1,0]
	v_pk_fma_f32 v[68:69], v[44:45], v[78:79], v[122:123] op_sel:[0,1,1] op_sel_hi:[1,1,0]
	v_mov_b32_e32 v51, v19
	v_mov_b32_e32 v53, v13
	;; [unrolled: 1-line block ×4, first 2 shown]
	v_pk_fma_f32 v[18:19], v[22:23], v[76:77], v[66:67] op_sel:[0,0,1] op_sel_hi:[1,1,0] neg_lo:[0,0,1] neg_hi:[0,0,1]
	v_pk_fma_f32 v[12:13], v[22:23], v[76:77], v[66:67] op_sel:[0,0,1] op_sel_hi:[1,0,0]
	v_pk_fma_f32 v[14:15], v[44:45], v[30:31], v[122:123] op_sel:[0,0,1] op_sel_hi:[1,1,0] neg_lo:[0,0,1] neg_hi:[0,0,1]
	v_mov_b32_e32 v63, v31
	v_mov_b32_e32 v65, v41
	v_pk_add_f32 v[44:45], v[50:51], v[56:57]
	v_pk_add_f32 v[58:59], v[52:53], v[50:51] neg_lo:[0,1] neg_hi:[0,1]
	v_pk_add_f32 v[66:67], v[54:55], v[56:57] neg_lo:[0,1] neg_hi:[0,1]
	v_mov_b32_e32 v19, v13
	v_mov_b32_e32 v15, v69
	v_pk_add_f32 v[40:41], v[52:53], v[54:55] neg_lo:[0,1] neg_hi:[0,1]
	v_pk_add_f32 v[12:13], v[64:65], v[62:63] neg_lo:[0,1] neg_hi:[0,1]
	v_pk_fma_f32 v[44:45], v[44:45], 0.5, v[16:17] op_sel_hi:[1,0,1] neg_lo:[1,0,0] neg_hi:[1,0,0]
	v_pk_add_f32 v[58:59], v[58:59], v[66:67]
	v_pk_add_f32 v[66:67], v[18:19], v[14:15] neg_lo:[0,1] neg_hi:[0,1]
	v_pk_add_f32 v[68:69], v[14:15], v[62:63]
	v_pk_add_f32 v[72:73], v[18:19], v[64:65] neg_lo:[0,1] neg_hi:[0,1]
	v_pk_add_f32 v[22:23], v[50:51], v[56:57] neg_lo:[0,1] neg_hi:[0,1]
	;; [unrolled: 1-line block ×3, first 2 shown]
	v_pk_add_f32 v[122:123], v[36:37], v[18:19]
	v_pk_fma_f32 v[126:127], v[40:41], s[12:13], v[44:45] op_sel:[1,0,0] op_sel_hi:[0,0,1] neg_lo:[1,0,0] neg_hi:[1,0,0]
	v_pk_fma_f32 v[44:45], v[40:41], s[12:13], v[44:45] op_sel:[1,0,0] op_sel_hi:[0,0,1]
	v_pk_add_f32 v[66:67], v[66:67], v[12:13]
	v_pk_fma_f32 v[12:13], v[68:69], 0.5, v[36:37] op_sel_hi:[1,0,1] neg_lo:[1,0,0] neg_hi:[1,0,0]
	v_pk_mul_f32 v[68:69], v[72:73], s[12:13] op_sel_hi:[1,0]
	v_pk_add_f32 v[124:125], v[14:15], v[18:19] neg_lo:[0,1] neg_hi:[0,1]
	v_pk_mul_f32 v[128:129], v[120:121], s[14:15] op_sel_hi:[1,0]
	v_pk_add_f32 v[14:15], v[122:123], v[14:15]
	v_pk_fma_f32 v[44:45], v[22:23], s[14:15], v[44:45] op_sel:[1,0,0] op_sel_hi:[0,0,1] neg_lo:[1,0,0] neg_hi:[1,0,0]
	v_pk_fma_f32 v[122:123], v[22:23], s[14:15], v[126:127] op_sel:[1,0,0] op_sel_hi:[0,0,1]
	v_pk_add_f32 v[126:127], v[12:13], v[68:69] op_sel:[0,1] op_sel_hi:[1,0]
	v_pk_add_f32 v[12:13], v[12:13], v[68:69] op_sel:[0,1] op_sel_hi:[1,0] neg_lo:[0,1] neg_hi:[0,1]
	v_pk_add_f32 v[14:15], v[14:15], v[62:63]
	v_mov_b32_e32 v68, v122
	v_mov_b32_e32 v69, v45
	;; [unrolled: 1-line block ×3, first 2 shown]
	v_pk_add_f32 v[122:123], v[12:13], v[128:129] op_sel:[0,1] op_sel_hi:[1,0] neg_lo:[0,1] neg_hi:[0,1]
	v_pk_add_f32 v[126:127], v[126:127], v[128:129] op_sel:[0,1] op_sel_hi:[1,0]
	v_pk_add_f32 v[18:19], v[18:19], v[64:65]
	v_pk_add_f32 v[128:129], v[14:15], v[64:65]
	v_pk_fma_f32 v[14:15], v[58:59], s[0:1], v[44:45] op_sel_hi:[1,0,1]
	v_mov_b32_e32 v44, v126
	v_mov_b32_e32 v45, v123
	v_pk_fma_f32 v[18:19], v[18:19], 0.5, v[36:37] op_sel_hi:[1,0,1] neg_lo:[1,0,0] neg_hi:[1,0,0]
	v_pk_mul_f32 v[36:37], v[120:121], s[12:13] op_sel_hi:[1,0]
	v_pk_fma_f32 v[12:13], v[58:59], s[0:1], v[68:69] op_sel_hi:[1,0,1]
	v_pk_fma_f32 v[44:45], v[66:67], s[0:1], v[44:45] op_sel_hi:[1,0,1]
	v_pk_add_f32 v[58:59], v[18:19], v[36:37] op_sel:[0,1] op_sel_hi:[1,0] neg_lo:[0,1] neg_hi:[0,1]
	v_pk_add_f32 v[18:19], v[18:19], v[36:37] op_sel:[0,1] op_sel_hi:[1,0]
	v_pk_mul_f32 v[36:37], v[72:73], s[14:15] op_sel_hi:[1,0]
	ds_write2_b64 v91, v[128:129], v[44:45] offset1:16
	v_pk_add_f32 v[44:45], v[62:63], v[64:65] neg_lo:[0,1] neg_hi:[0,1]
	v_pk_add_f32 v[18:19], v[18:19], v[36:37] op_sel:[0,1] op_sel_hi:[1,0] neg_lo:[0,1] neg_hi:[0,1]
	v_pk_add_f32 v[36:37], v[58:59], v[36:37] op_sel:[0,1] op_sel_hi:[1,0]
	v_pk_add_f32 v[44:45], v[124:125], v[44:45]
	v_mov_b32_e32 v58, v36
	v_mov_b32_e32 v59, v19
	;; [unrolled: 1-line block ×3, first 2 shown]
	v_pk_fma_f32 v[36:37], v[44:45], s[0:1], v[58:59] op_sel_hi:[1,0,1]
	v_pk_fma_f32 v[18:19], v[44:45], s[0:1], v[18:19] op_sel_hi:[1,0,1]
	ds_write2_b64 v91, v[36:37], v[18:19] offset0:32 offset1:48
	v_pk_mul_f32 v[18:19], v[46:47], v[8:9] op_sel_hi:[1,0]
	v_pk_mul_f32 v[44:45], v[42:43], v[118:119] op_sel_hi:[1,0]
	v_mov_b32_e32 v123, v127
	v_pk_fma_f32 v[36:37], v[46:47], v[30:31], v[18:19] op_sel:[0,0,1] op_sel_hi:[1,1,0] neg_lo:[0,0,1] neg_hi:[0,0,1]
	v_pk_fma_f32 v[18:19], v[46:47], v[78:79], v[18:19] op_sel:[0,1,1] op_sel_hi:[1,1,0]
	v_pk_fma_f32 v[46:47], v[42:43], v[74:75], v[44:45] op_sel:[0,0,1] op_sel_hi:[1,1,0] neg_lo:[0,0,1] neg_hi:[0,0,1]
	v_pk_fma_f32 v[42:43], v[42:43], v[10:11], v[44:45] op_sel:[0,1,1] op_sel_hi:[1,1,0]
	v_pk_fma_f32 v[44:45], v[66:67], s[0:1], v[122:123] op_sel_hi:[1,0,1]
	ds_write_b64 v91, v[44:45] offset:512
	v_pk_mul_f32 v[44:45], v[32:33], v[78:79] op_sel_hi:[1,0]
	v_mov_b32_e32 v37, v19
	v_pk_fma_f32 v[58:59], v[32:33], v[76:77], v[44:45] op_sel:[0,0,1] op_sel_hi:[1,1,0] neg_lo:[0,0,1] neg_hi:[0,0,1]
	v_pk_fma_f32 v[32:33], v[32:33], v[76:77], v[44:45] op_sel:[0,0,1] op_sel_hi:[1,0,0]
	v_pk_mul_f32 v[18:19], v[24:25], v[10:11] op_sel_hi:[1,0]
	v_mov_b32_e32 v59, v33
	v_pk_fma_f32 v[32:33], v[24:25], v[70:71], v[18:19] op_sel:[0,0,1] op_sel_hi:[1,1,0] neg_lo:[0,0,1] neg_hi:[0,0,1]
	v_pk_fma_f32 v[18:19], v[24:25], v[8:9], v[18:19] op_sel:[0,1,1] op_sel_hi:[1,1,0]
	v_mov_b32_e32 v47, v43
	v_mov_b32_e32 v33, v19
	v_pk_add_f32 v[18:19], v[58:59], v[36:37] neg_lo:[0,1] neg_hi:[0,1]
	v_pk_add_f32 v[24:25], v[46:47], v[32:33] neg_lo:[0,1] neg_hi:[0,1]
	;; [unrolled: 1-line block ×3, first 2 shown]
	v_pk_add_f32 v[18:19], v[18:19], v[24:25]
	v_pk_add_f32 v[24:25], v[36:37], v[32:33]
	v_pk_mul_f32 v[44:45], v[42:43], s[12:13] op_sel_hi:[1,0]
	v_pk_fma_f32 v[24:25], v[24:25], 0.5, v[38:39] op_sel_hi:[1,0,1] neg_lo:[1,0,0] neg_hi:[1,0,0]
	v_add_u32_e32 v31, 0x50, v94
	v_pk_add_f32 v[62:63], v[24:25], v[44:45] op_sel:[0,1] op_sel_hi:[1,0]
	v_pk_add_f32 v[24:25], v[24:25], v[44:45] op_sel:[0,1] op_sel_hi:[1,0] neg_lo:[0,1] neg_hi:[0,1]
	v_pk_add_f32 v[44:45], v[36:37], v[32:33] neg_lo:[0,1] neg_hi:[0,1]
	v_lshrrev_b32_e32 v31, 4, v31
	v_pk_mul_f32 v[64:65], v[44:45], s[14:15] op_sel_hi:[1,0]
	v_mul_u32_u24_e32 v31, 0x50, v31
	v_pk_add_f32 v[24:25], v[24:25], v[64:65] op_sel:[0,1] op_sel_hi:[1,0] neg_lo:[0,1] neg_hi:[0,1]
	v_pk_add_f32 v[62:63], v[62:63], v[64:65] op_sel:[0,1] op_sel_hi:[1,0]
	v_pk_add_f32 v[64:65], v[38:39], v[58:59]
	v_or_b32_e32 v31, v31, v71
	v_pk_add_f32 v[64:65], v[64:65], v[36:37]
	v_mov_b32_e32 v66, v62
	v_pk_add_f32 v[64:65], v[64:65], v[32:33]
	v_mov_b32_e32 v67, v25
	v_lshlrev_b32_e32 v164, 3, v31
	v_pk_add_f32 v[64:65], v[64:65], v[46:47]
	v_pk_fma_f32 v[66:67], v[18:19], s[0:1], v[66:67] op_sel_hi:[1,0,1]
	ds_write2_b64 v164, v[64:65], v[66:67] offset1:16
	v_pk_add_f32 v[64:65], v[58:59], v[46:47]
	v_pk_add_f32 v[36:37], v[36:37], v[58:59] neg_lo:[0,1] neg_hi:[0,1]
	v_pk_add_f32 v[32:33], v[32:33], v[46:47] neg_lo:[0,1] neg_hi:[0,1]
	v_pk_fma_f32 v[38:39], v[64:65], 0.5, v[38:39] op_sel_hi:[1,0,1] neg_lo:[1,0,0] neg_hi:[1,0,0]
	v_pk_add_f32 v[32:33], v[36:37], v[32:33]
	v_pk_mul_f32 v[36:37], v[44:45], s[12:13] op_sel_hi:[1,0]
	v_add_u32_e32 v31, 0xa0, v94
	v_pk_add_f32 v[44:45], v[38:39], v[36:37] op_sel:[0,1] op_sel_hi:[1,0] neg_lo:[0,1] neg_hi:[0,1]
	v_pk_add_f32 v[36:37], v[38:39], v[36:37] op_sel:[0,1] op_sel_hi:[1,0]
	v_pk_mul_f32 v[38:39], v[42:43], s[14:15] op_sel_hi:[1,0]
	v_mov_b32_e32 v25, v63
	v_pk_add_f32 v[36:37], v[36:37], v[38:39] op_sel:[0,1] op_sel_hi:[1,0] neg_lo:[0,1] neg_hi:[0,1]
	v_pk_add_f32 v[38:39], v[44:45], v[38:39] op_sel:[0,1] op_sel_hi:[1,0]
	v_mov_b32_e32 v43, v37
	v_mov_b32_e32 v42, v38
	;; [unrolled: 1-line block ×3, first 2 shown]
	v_pk_fma_f32 v[38:39], v[32:33], s[0:1], v[42:43] op_sel_hi:[1,0,1]
	v_pk_fma_f32 v[32:33], v[32:33], s[0:1], v[36:37] op_sel_hi:[1,0,1]
	ds_write2_b64 v164, v[38:39], v[32:33] offset0:32 offset1:48
	v_pk_add_f32 v[32:33], v[52:53], v[54:55]
	v_pk_add_f32 v[38:39], v[56:57], v[54:55] neg_lo:[0,1] neg_hi:[0,1]
	v_pk_fma_f32 v[32:33], v[32:33], 0.5, v[16:17] op_sel_hi:[1,0,1] neg_lo:[1,0,0] neg_hi:[1,0,0]
	v_pk_fma_f32 v[24:25], v[18:19], s[0:1], v[24:25] op_sel_hi:[1,0,1]
	v_pk_fma_f32 v[36:37], v[22:23], s[12:13], v[32:33] op_sel:[1,0,0] op_sel_hi:[0,0,1]
	v_pk_fma_f32 v[22:23], v[22:23], s[12:13], v[32:33] op_sel:[1,0,0] op_sel_hi:[0,0,1] neg_lo:[1,0,0] neg_hi:[1,0,0]
	v_pk_fma_f32 v[22:23], v[40:41], s[14:15], v[22:23] op_sel:[1,0,0] op_sel_hi:[0,0,1] neg_lo:[1,0,0] neg_hi:[1,0,0]
	v_pk_fma_f32 v[32:33], v[40:41], s[14:15], v[36:37] op_sel:[1,0,0] op_sel_hi:[0,0,1]
	v_pk_add_f32 v[36:37], v[50:51], v[52:53] neg_lo:[0,1] neg_hi:[0,1]
	ds_write_b64 v164, v[24:25] offset:512
	v_pk_add_f32 v[36:37], v[36:37], v[38:39]
	v_mov_b32_e32 v39, v23
	v_mov_b32_e32 v23, v33
	v_pk_fma_f32 v[122:123], v[36:37], s[0:1], v[22:23] op_sel_hi:[1,0,1]
	v_lshrrev_b32_e32 v22, 4, v31
	v_mul_u32_u24_e32 v22, 0x50, v22
	v_or_b32_e32 v22, v22, v71
	v_lshlrev_b32_e32 v95, 3, v22
	v_pk_mul_f32 v[22:23], v[34:35], v[78:79] op_sel_hi:[1,0]
	v_mov_b32_e32 v38, v32
	v_pk_fma_f32 v[24:25], v[34:35], v[76:77], v[22:23] op_sel:[0,0,1] op_sel_hi:[1,1,0] neg_lo:[0,0,1] neg_hi:[0,0,1]
	v_pk_fma_f32 v[22:23], v[34:35], v[76:77], v[22:23] op_sel:[0,0,1] op_sel_hi:[1,0,0]
	v_pk_fma_f32 v[18:19], v[36:37], s[0:1], v[38:39] op_sel_hi:[1,0,1]
	v_mov_b32_e32 v25, v23
	v_pk_mul_f32 v[22:23], v[28:29], v[8:9] op_sel_hi:[1,0]
	v_or_b32_e32 v58, 4, v60
	v_pk_fma_f32 v[30:31], v[28:29], v[30:31], v[22:23] op_sel:[0,0,1] op_sel_hi:[1,1,0] neg_lo:[0,0,1] neg_hi:[0,0,1]
	v_pk_fma_f32 v[22:23], v[28:29], v[78:79], v[22:23] op_sel:[0,1,1] op_sel_hi:[1,1,0]
	s_nop 0
	v_mov_b32_e32 v31, v23
	v_pk_mul_f32 v[22:23], v[26:27], v[10:11] op_sel_hi:[1,0]
	v_pk_add_f32 v[42:43], v[24:25], v[30:31] neg_lo:[0,1] neg_hi:[0,1]
	v_pk_fma_f32 v[28:29], v[26:27], v[70:71], v[22:23] op_sel:[0,0,1] op_sel_hi:[1,1,0] neg_lo:[0,0,1] neg_hi:[0,0,1]
	v_pk_fma_f32 v[22:23], v[26:27], v[8:9], v[22:23] op_sel:[0,1,1] op_sel_hi:[1,1,0]
	s_nop 0
	v_mov_b32_e32 v29, v23
	v_pk_mul_f32 v[22:23], v[48:49], v[118:119] op_sel_hi:[1,0]
	v_pk_add_f32 v[32:33], v[30:31], v[28:29]
	v_pk_fma_f32 v[26:27], v[48:49], v[74:75], v[22:23] op_sel:[0,0,1] op_sel_hi:[1,1,0] neg_lo:[0,0,1] neg_hi:[0,0,1]
	v_pk_fma_f32 v[22:23], v[48:49], v[10:11], v[22:23] op_sel:[0,1,1] op_sel_hi:[1,1,0]
	v_pk_fma_f32 v[32:33], v[32:33], 0.5, v[20:21] op_sel_hi:[1,0,1] neg_lo:[1,0,0] neg_hi:[1,0,0]
	v_mov_b32_e32 v27, v23
	v_pk_add_f32 v[34:35], v[24:25], v[26:27] neg_lo:[0,1] neg_hi:[0,1]
	v_pk_add_f32 v[38:39], v[30:31], v[28:29] neg_lo:[0,1] neg_hi:[0,1]
	v_pk_mul_f32 v[36:37], v[34:35], s[12:13] op_sel_hi:[1,0]
	v_pk_add_f32 v[44:45], v[26:27], v[28:29] neg_lo:[0,1] neg_hi:[0,1]
	v_pk_add_f32 v[22:23], v[20:21], v[24:25]
	v_pk_mul_f32 v[40:41], v[38:39], s[14:15] op_sel_hi:[1,0]
	v_pk_add_f32 v[42:43], v[42:43], v[44:45]
	v_pk_add_f32 v[44:45], v[32:33], v[36:37] op_sel:[0,1] op_sel_hi:[1,0]
	v_pk_add_f32 v[32:33], v[32:33], v[36:37] op_sel:[0,1] op_sel_hi:[1,0] neg_lo:[0,1] neg_hi:[0,1]
	v_pk_add_f32 v[22:23], v[22:23], v[30:31]
	v_pk_add_f32 v[32:33], v[32:33], v[40:41] op_sel:[0,1] op_sel_hi:[1,0] neg_lo:[0,1] neg_hi:[0,1]
	v_pk_add_f32 v[36:37], v[44:45], v[40:41] op_sel:[0,1] op_sel_hi:[1,0]
	v_pk_add_f32 v[22:23], v[22:23], v[28:29]
	v_mov_b32_e32 v40, v36
	v_mov_b32_e32 v41, v33
	v_pk_add_f32 v[22:23], v[22:23], v[26:27]
	v_pk_fma_f32 v[40:41], v[42:43], s[0:1], v[40:41] op_sel_hi:[1,0,1]
	ds_write2_b64 v95, v[22:23], v[40:41] offset1:16
	v_pk_add_f32 v[22:23], v[24:25], v[26:27]
	v_mov_b32_e32 v33, v37
	v_pk_fma_f32 v[20:21], v[22:23], 0.5, v[20:21] op_sel_hi:[1,0,1] neg_lo:[1,0,0] neg_hi:[1,0,0]
	v_pk_add_f32 v[22:23], v[30:31], v[24:25] neg_lo:[0,1] neg_hi:[0,1]
	v_pk_add_f32 v[24:25], v[28:29], v[26:27] neg_lo:[0,1] neg_hi:[0,1]
	v_pk_mul_f32 v[26:27], v[34:35], s[14:15] op_sel_hi:[1,0]
	v_pk_add_f32 v[22:23], v[22:23], v[24:25]
	v_pk_mul_f32 v[24:25], v[38:39], s[12:13] op_sel_hi:[1,0]
	s_nop 0
	v_pk_add_f32 v[28:29], v[20:21], v[24:25] op_sel:[0,1] op_sel_hi:[1,0] neg_lo:[0,1] neg_hi:[0,1]
	v_pk_add_f32 v[20:21], v[20:21], v[24:25] op_sel:[0,1] op_sel_hi:[1,0]
	v_pk_add_f32 v[24:25], v[28:29], v[26:27] op_sel:[0,1] op_sel_hi:[1,0]
	v_pk_add_f32 v[20:21], v[20:21], v[26:27] op_sel:[0,1] op_sel_hi:[1,0] neg_lo:[0,1] neg_hi:[0,1]
	v_mov_b32_e32 v26, v24
	v_mov_b32_e32 v27, v21
	;; [unrolled: 1-line block ×3, first 2 shown]
	v_pk_fma_f32 v[26:27], v[22:23], s[0:1], v[26:27] op_sel_hi:[1,0,1]
	v_pk_fma_f32 v[20:21], v[22:23], s[0:1], v[20:21] op_sel_hi:[1,0,1]
	ds_write2_b64 v95, v[26:27], v[20:21] offset0:32 offset1:48
	v_pk_fma_f32 v[20:21], v[42:43], s[0:1], v[32:33] op_sel_hi:[1,0,1]
	ds_write_b64 v95, v[20:21] offset:512
	s_and_saveexec_b64 s[0:1], vcc
	s_cbranch_execz .LBB0_5
; %bb.4:
	v_pk_add_f32 v[16:17], v[16:17], v[50:51]
	v_add_u32_e32 v20, 0x2000, v86
	v_pk_add_f32 v[16:17], v[16:17], v[52:53]
	s_nop 0
	v_pk_add_f32 v[16:17], v[16:17], v[54:55]
	s_nop 0
	v_pk_add_f32 v[16:17], v[16:17], v[56:57]
	ds_write2_b64 v20, v[16:17], v[18:19] offset0:176 offset1:192
	ds_write2_b64 v20, v[12:13], v[14:15] offset0:208 offset1:224
	ds_write_b64 v86, v[122:123] offset:10112
.LBB0_5:
	s_or_b64 exec, exec, s[0:1]
	s_movk_i32 s0, 0x78
	v_mov_b64_e32 v[16:17], s[10:11]
	v_mad_u64_u32 v[16:17], s[0:1], v94, s0, v[16:17]
	s_waitcnt lgkmcnt(0)
	s_barrier
	global_load_dwordx4 v[24:27], v[16:17], off offset:560
	global_load_dwordx4 v[32:35], v[16:17], off offset:544
	;; [unrolled: 1-line block ×7, first 2 shown]
	global_load_dwordx2 v[120:121], v[16:17], off offset:624
	ds_read2_b64 v[48:51], v86 offset1:80
	ds_read2_b64 v[62:65], v86 offset0:160 offset1:240
	v_add_u32_e32 v52, 0x800, v86
	v_add_u32_e32 v16, 0xc00, v86
	;; [unrolled: 1-line block ×6, first 2 shown]
	ds_read2_b64 v[66:69], v52 offset0:64 offset1:144
	ds_read2_b64 v[70:73], v16 offset0:96 offset1:176
	ds_read2_b64 v[138:141], v54 offset0:128 offset1:208
	ds_read2_b64 v[142:145], v53 offset0:32 offset1:112
	ds_read2_b64 v[146:149], v17 offset0:64 offset1:144
	ds_read2_b64 v[150:153], v55 offset0:96 offset1:176
	s_add_u32 s14, s8, 0x2800
	s_mov_b32 s8, 0x3f3504f3
	s_mov_b32 s12, 0x3f6c835e
	;; [unrolled: 1-line block ×3, first 2 shown]
	s_addc_u32 s15, s9, 0
	s_movk_i32 s0, 0x1000
	v_mov_b32_e32 v77, v76
	v_mov_b32_e32 v119, v118
	s_waitcnt vmcnt(7)
	v_mov_b32_e32 v130, v27
	s_waitcnt vmcnt(6)
	v_mov_b32_e32 v132, v35
	s_waitcnt vmcnt(5) lgkmcnt(6)
	v_pk_mul_f32 v[56:57], v[64:65], v[40:41] op_sel:[0,1]
	s_waitcnt vmcnt(4)
	v_pk_mul_f32 v[158:159], v[50:51], v[44:45] op_sel:[0,1]
	v_mov_b32_e32 v136, v47
	v_pk_fma_f32 v[166:167], v[64:65], v[40:41], v[56:57] op_sel:[0,0,1] op_sel_hi:[1,1,0] neg_lo:[0,0,1] neg_hi:[0,0,1]
	s_waitcnt vmcnt(1)
	v_mov_b32_e32 v128, v39
	s_waitcnt lgkmcnt(3)
	v_pk_mul_f32 v[156:157], v[140:141], v[36:37] op_sel:[0,1]
	v_pk_fma_f32 v[56:57], v[64:65], v[40:41], v[56:57] op_sel:[0,0,1] op_sel_hi:[1,0,0]
	v_pk_fma_f32 v[172:173], v[140:141], v[36:37], v[156:157] op_sel:[0,0,1] op_sel_hi:[1,1,0] neg_lo:[0,0,1] neg_hi:[0,0,1]
	v_pk_fma_f32 v[140:141], v[140:141], v[36:37], v[156:157] op_sel:[0,0,1] op_sel_hi:[1,0,0]
	v_pk_fma_f32 v[156:157], v[50:51], v[44:45], v[158:159] op_sel:[0,0,1] op_sel_hi:[1,1,0] neg_lo:[0,0,1] neg_hi:[0,0,1]
	v_pk_fma_f32 v[50:51], v[50:51], v[44:45], v[158:159] op_sel:[0,0,1] op_sel_hi:[1,0,0]
	s_waitcnt lgkmcnt(2)
	v_pk_mul_f32 v[158:159], v[142:143], v[128:129] op_sel_hi:[1,0]
	v_pk_mul_f32 v[162:163], v[62:63], v[136:137] op_sel_hi:[1,0]
	v_mov_b32_e32 v157, v51
	v_mov_b32_e32 v167, v57
	v_pk_fma_f32 v[50:51], v[142:143], v[38:39], v[158:159] op_sel:[0,0,1] op_sel_hi:[1,1,0] neg_lo:[0,0,1] neg_hi:[0,0,1]
	v_pk_fma_f32 v[56:57], v[142:143], v[38:39], v[158:159] op_sel:[0,0,1] op_sel_hi:[1,0,0]
	v_mov_b32_e32 v134, v43
	v_pk_fma_f32 v[176:177], v[62:63], v[46:47], v[162:163] op_sel:[0,0,1] op_sel_hi:[1,1,0] neg_lo:[0,0,1] neg_hi:[0,0,1]
	v_pk_fma_f32 v[62:63], v[62:63], v[46:47], v[162:163] op_sel:[0,0,1] op_sel_hi:[1,0,0]
	v_mov_b32_e32 v51, v57
	s_waitcnt lgkmcnt(1)
	v_pk_mul_f32 v[56:57], v[148:149], v[20:21] op_sel:[0,1]
	v_mov_b32_e32 v124, v23
	v_pk_mul_f32 v[64:65], v[66:67], v[134:135] op_sel_hi:[1,0]
	v_mov_b32_e32 v177, v63
	v_pk_fma_f32 v[62:63], v[148:149], v[20:21], v[56:57] op_sel:[0,0,1] op_sel_hi:[1,1,0] neg_lo:[0,0,1] neg_hi:[0,0,1]
	v_pk_fma_f32 v[56:57], v[148:149], v[20:21], v[56:57] op_sel:[0,0,1] op_sel_hi:[1,0,0]
	v_mov_b32_e32 v126, v31
	v_pk_mul_f32 v[74:75], v[68:69], v[32:33] op_sel:[0,1]
	v_pk_mul_f32 v[154:155], v[72:73], v[24:25] op_sel:[0,1]
	v_pk_mul_f32 v[160:161], v[144:145], v[28:29] op_sel:[0,1]
	v_pk_fma_f32 v[162:163], v[66:67], v[42:43], v[64:65] op_sel:[0,0,1] op_sel_hi:[1,1,0] neg_lo:[0,0,1] neg_hi:[0,0,1]
	v_pk_fma_f32 v[64:65], v[66:67], v[42:43], v[64:65] op_sel:[0,0,1] op_sel_hi:[1,0,0]
	v_mov_b32_e32 v63, v57
	s_waitcnt lgkmcnt(0)
	v_pk_mul_f32 v[56:57], v[150:151], v[124:125] op_sel_hi:[1,0]
	v_pk_fma_f32 v[168:169], v[68:69], v[32:33], v[74:75] op_sel:[0,0,1] op_sel_hi:[1,1,0] neg_lo:[0,0,1] neg_hi:[0,0,1]
	v_pk_fma_f32 v[68:69], v[68:69], v[32:33], v[74:75] op_sel:[0,0,1] op_sel_hi:[1,0,0]
	v_pk_mul_f32 v[74:75], v[70:71], v[132:133] op_sel_hi:[1,0]
	v_pk_fma_f32 v[170:171], v[72:73], v[24:25], v[154:155] op_sel:[0,0,1] op_sel_hi:[1,1,0] neg_lo:[0,0,1] neg_hi:[0,0,1]
	v_pk_fma_f32 v[72:73], v[72:73], v[24:25], v[154:155] op_sel:[0,0,1] op_sel_hi:[1,0,0]
	;; [unrolled: 3-line block ×3, first 2 shown]
	v_pk_mul_f32 v[160:161], v[146:147], v[126:127] op_sel_hi:[1,0]
	v_mov_b32_e32 v163, v65
	v_pk_fma_f32 v[64:65], v[150:151], v[22:23], v[56:57] op_sel:[0,0,1] op_sel_hi:[1,1,0] neg_lo:[0,0,1] neg_hi:[0,0,1]
	v_pk_fma_f32 v[56:57], v[150:151], v[22:23], v[56:57] op_sel:[0,0,1] op_sel_hi:[1,0,0]
	v_pk_fma_f32 v[66:67], v[70:71], v[34:35], v[74:75] op_sel:[0,0,1] op_sel_hi:[1,1,0] neg_lo:[0,0,1] neg_hi:[0,0,1]
	v_pk_fma_f32 v[70:71], v[70:71], v[34:35], v[74:75] op_sel:[0,0,1] op_sel_hi:[1,0,0]
	;; [unrolled: 2-line block ×3, first 2 shown]
	v_mov_b32_e32 v169, v69
	v_mov_b32_e32 v171, v73
	v_pk_fma_f32 v[68:69], v[146:147], v[30:31], v[160:161] op_sel:[0,0,1] op_sel_hi:[1,1,0] neg_lo:[0,0,1] neg_hi:[0,0,1]
	v_pk_fma_f32 v[72:73], v[146:147], v[30:31], v[160:161] op_sel:[0,0,1] op_sel_hi:[1,0,0]
	v_mov_b32_e32 v65, v57
	s_waitcnt vmcnt(0)
	v_pk_mul_f32 v[56:57], v[152:153], v[120:121] op_sel:[0,1]
	v_mov_b32_e32 v67, v71
	v_mov_b32_e32 v75, v139
	;; [unrolled: 1-line block ×3, first 2 shown]
	v_pk_fma_f32 v[70:71], v[152:153], v[120:121], v[56:57] op_sel:[0,0,1] op_sel_hi:[1,1,0] neg_lo:[0,0,1] neg_hi:[0,0,1]
	v_pk_fma_f32 v[56:57], v[152:153], v[120:121], v[56:57] op_sel:[0,0,1] op_sel_hi:[1,0,0]
	v_pk_add_f32 v[68:69], v[162:163], v[68:69] neg_lo:[0,1] neg_hi:[0,1]
	v_mov_b32_e32 v71, v57
	v_pk_add_f32 v[56:57], v[48:49], v[74:75] neg_lo:[0,1] neg_hi:[0,1]
	v_mov_b32_e32 v173, v141
	v_pk_fma_f32 v[72:73], v[162:163], 2.0, v[68:69] op_sel_hi:[1,0,1] neg_lo:[0,0,1] neg_hi:[0,0,1]
	v_pk_add_f32 v[50:51], v[176:177], v[50:51] neg_lo:[0,1] neg_hi:[0,1]
	v_pk_add_f32 v[64:65], v[66:67], v[64:65] neg_lo:[0,1] neg_hi:[0,1]
	v_pk_add_f32 v[150:151], v[56:57], v[68:69] op_sel:[0,1] op_sel_hi:[1,0] neg_lo:[0,1] neg_hi:[0,1]
	v_pk_add_f32 v[68:69], v[56:57], v[68:69] op_sel:[0,1] op_sel_hi:[1,0]
	v_pk_fma_f32 v[66:67], v[66:67], 2.0, v[64:65] op_sel_hi:[1,0,1] neg_lo:[0,0,1] neg_hi:[0,0,1]
	v_pk_add_f32 v[138:139], v[156:157], v[172:173] neg_lo:[0,1] neg_hi:[0,1]
	v_pk_add_f32 v[62:63], v[168:169], v[62:63] neg_lo:[0,1] neg_hi:[0,1]
	v_mov_b32_e32 v151, v69
	v_pk_add_f32 v[68:69], v[50:51], v[64:65] op_sel:[0,1] op_sel_hi:[1,0] neg_lo:[0,1] neg_hi:[0,1]
	v_pk_add_f32 v[64:65], v[50:51], v[64:65] op_sel:[0,1] op_sel_hi:[1,0]
	v_mov_b32_e32 v175, v145
	v_pk_fma_f32 v[142:143], v[168:169], 2.0, v[62:63] op_sel_hi:[1,0,1] neg_lo:[0,0,1] neg_hi:[0,0,1]
	v_mov_b32_e32 v69, v65
	v_pk_add_f32 v[64:65], v[138:139], v[62:63] op_sel:[0,1] op_sel_hi:[1,0] neg_lo:[0,1] neg_hi:[0,1]
	v_pk_add_f32 v[62:63], v[138:139], v[62:63] op_sel:[0,1] op_sel_hi:[1,0]
	v_pk_add_f32 v[144:145], v[166:167], v[174:175] neg_lo:[0,1] neg_hi:[0,1]
	v_pk_add_f32 v[70:71], v[170:171], v[70:71] neg_lo:[0,1] neg_hi:[0,1]
	v_mov_b32_e32 v65, v63
	v_pk_fma_f32 v[140:141], v[156:157], 2.0, v[138:139] op_sel_hi:[1,0,1] neg_lo:[0,0,1] neg_hi:[0,0,1]
	v_pk_fma_f32 v[148:149], v[170:171], 2.0, v[70:71] op_sel_hi:[1,0,1] neg_lo:[0,0,1] neg_hi:[0,0,1]
	;; [unrolled: 1-line block ×3, first 2 shown]
	v_pk_add_f32 v[138:139], v[144:145], v[70:71] op_sel:[0,1] op_sel_hi:[1,0] neg_lo:[0,1] neg_hi:[0,1]
	v_pk_add_f32 v[70:71], v[144:145], v[70:71] op_sel:[0,1] op_sel_hi:[1,0]
	v_pk_fma_f32 v[48:49], v[48:49], 2.0, v[56:57] op_sel_hi:[1,0,1] neg_lo:[0,0,1] neg_hi:[0,0,1]
	v_pk_fma_f32 v[74:75], v[176:177], 2.0, v[50:51] op_sel_hi:[1,0,1] neg_lo:[0,0,1] neg_hi:[0,0,1]
	;; [unrolled: 1-line block ×4, first 2 shown]
	v_mov_b32_e32 v139, v71
	v_pk_fma_f32 v[146:147], v[166:167], 2.0, v[144:145] op_sel_hi:[1,0,1] neg_lo:[0,0,1] neg_hi:[0,0,1]
	v_pk_fma_f32 v[70:71], v[144:145], 2.0, v[138:139] op_sel_hi:[1,0,1] neg_lo:[0,0,1] neg_hi:[0,0,1]
	v_pk_mul_f32 v[144:145], v[50:51], s[8:9] op_sel_hi:[1,0]
	v_pk_fma_f32 v[50:51], v[50:51], s[8:9], v[56:57] op_sel_hi:[1,0,1] neg_lo:[1,0,0] neg_hi:[1,0,0]
	v_pk_add_f32 v[72:73], v[48:49], v[72:73] neg_lo:[0,1] neg_hi:[0,1]
	v_pk_add_f32 v[152:153], v[50:51], v[144:145] op_sel:[0,1] op_sel_hi:[1,0] neg_lo:[0,1] neg_hi:[0,1]
	v_pk_add_f32 v[50:51], v[50:51], v[144:145] op_sel:[0,1] op_sel_hi:[1,0]
	v_pk_mul_f32 v[144:145], v[70:71], s[8:9] op_sel_hi:[1,0]
	v_pk_fma_f32 v[70:71], v[70:71], s[8:9], v[62:63] op_sel_hi:[1,0,1] neg_lo:[1,0,0] neg_hi:[1,0,0]
	v_pk_add_f32 v[66:67], v[74:75], v[66:67] neg_lo:[0,1] neg_hi:[0,1]
	v_pk_add_f32 v[154:155], v[70:71], v[144:145] op_sel:[0,1] op_sel_hi:[1,0] neg_lo:[0,1] neg_hi:[0,1]
	v_pk_add_f32 v[70:71], v[70:71], v[144:145] op_sel:[0,1] op_sel_hi:[1,0]
	v_pk_add_f32 v[142:143], v[140:141], v[142:143] neg_lo:[0,1] neg_hi:[0,1]
	v_pk_add_f32 v[148:149], v[146:147], v[148:149] neg_lo:[0,1] neg_hi:[0,1]
	v_mov_b32_e32 v153, v51
	v_mov_b32_e32 v155, v71
	v_pk_fma_f32 v[48:49], v[48:49], 2.0, v[72:73] op_sel_hi:[1,0,1] neg_lo:[0,0,1] neg_hi:[0,0,1]
	v_pk_fma_f32 v[74:75], v[74:75], 2.0, v[66:67] op_sel_hi:[1,0,1] neg_lo:[0,0,1] neg_hi:[0,0,1]
	;; [unrolled: 1-line block ×6, first 2 shown]
	v_pk_add_f32 v[74:75], v[48:49], v[74:75] neg_lo:[0,1] neg_hi:[0,1]
	v_pk_add_f32 v[146:147], v[140:141], v[146:147] neg_lo:[0,1] neg_hi:[0,1]
	v_pk_fma_f32 v[144:145], v[62:63], s[12:13], v[56:57] op_sel_hi:[1,0,1] neg_lo:[1,0,0] neg_hi:[1,0,0]
	v_pk_mul_f32 v[62:63], v[62:63], s[10:11] op_sel_hi:[1,0]
	v_pk_fma_f32 v[48:49], v[48:49], 2.0, v[74:75] op_sel_hi:[1,0,1] neg_lo:[0,0,1] neg_hi:[0,0,1]
	v_pk_fma_f32 v[140:141], v[140:141], 2.0, v[146:147] op_sel_hi:[1,0,1] neg_lo:[0,0,1] neg_hi:[0,0,1]
	v_pk_add_f32 v[156:157], v[144:145], v[62:63] op_sel:[0,1] op_sel_hi:[1,0] neg_lo:[0,1] neg_hi:[0,1]
	v_pk_add_f32 v[62:63], v[144:145], v[62:63] op_sel:[0,1] op_sel_hi:[1,0]
	v_pk_add_f32 v[140:141], v[48:49], v[140:141] neg_lo:[0,1] neg_hi:[0,1]
	v_mov_b32_e32 v157, v63
	v_pk_fma_f32 v[48:49], v[48:49], 2.0, v[140:141] op_sel_hi:[1,0,1] neg_lo:[0,0,1] neg_hi:[0,0,1]
	v_pk_fma_f32 v[56:57], v[56:57], 2.0, v[156:157] op_sel_hi:[1,0,1] neg_lo:[0,0,1] neg_hi:[0,0,1]
	v_fmamk_f32 v62, v154, 0x3ec3ef15, v152
	v_fmamk_f32 v63, v71, 0x3ec3ef15, v51
	v_fmac_f32_e32 v62, 0xbf6c835e, v71
	ds_write2_b64 v86, v[48:49], v[56:57] offset1:80
	v_pk_add_f32 v[48:49], v[72:73], v[66:67] op_sel:[0,1] op_sel_hi:[1,0] neg_lo:[0,1] neg_hi:[0,1]
	v_pk_add_f32 v[56:57], v[72:73], v[66:67] op_sel:[0,1] op_sel_hi:[1,0]
	v_pk_add_f32 v[66:67], v[142:143], v[148:149] op_sel:[0,1] op_sel_hi:[1,0] neg_lo:[0,1] neg_hi:[0,1]
	v_pk_add_f32 v[70:71], v[142:143], v[148:149] op_sel:[0,1] op_sel_hi:[1,0]
	v_mov_b32_e32 v49, v57
	v_mov_b32_e32 v67, v71
	v_pk_fma_f32 v[56:57], v[72:73], 2.0, v[48:49] op_sel_hi:[1,0,1] neg_lo:[0,0,1] neg_hi:[0,0,1]
	v_pk_fma_f32 v[70:71], v[142:143], 2.0, v[66:67] op_sel_hi:[1,0,1] neg_lo:[0,0,1] neg_hi:[0,0,1]
	v_pk_mul_f32 v[144:145], v[138:139], s[8:9] op_sel_hi:[1,0]
	v_pk_mul_f32 v[72:73], v[70:71], s[8:9] op_sel_hi:[1,0]
	v_pk_fma_f32 v[70:71], v[70:71], s[8:9], v[56:57] op_sel_hi:[1,0,1] neg_lo:[1,0,0] neg_hi:[1,0,0]
	v_pk_fma_f32 v[138:139], v[138:139], s[8:9], v[64:65] op_sel_hi:[1,0,1]
	v_pk_add_f32 v[142:143], v[70:71], v[72:73] op_sel:[0,1] op_sel_hi:[1,0] neg_lo:[0,1] neg_hi:[0,1]
	v_pk_add_f32 v[70:71], v[70:71], v[72:73] op_sel:[0,1] op_sel_hi:[1,0]
	v_pk_add_f32 v[148:149], v[138:139], v[144:145] op_sel:[0,1] op_sel_hi:[1,0] neg_lo:[0,1] neg_hi:[0,1]
	v_mov_b32_e32 v143, v71
	v_pk_mul_f32 v[70:71], v[68:69], s[8:9] op_sel_hi:[1,0]
	v_pk_fma_f32 v[68:69], v[68:69], s[8:9], v[150:151] op_sel_hi:[1,0,1]
	v_pk_add_f32 v[138:139], v[138:139], v[144:145] op_sel:[0,1] op_sel_hi:[1,0]
	v_pk_add_f32 v[72:73], v[68:69], v[70:71] op_sel:[0,1] op_sel_hi:[1,0] neg_lo:[0,1] neg_hi:[0,1]
	v_pk_add_f32 v[68:69], v[68:69], v[70:71] op_sel:[0,1] op_sel_hi:[1,0]
	v_mov_b32_e32 v149, v139
	v_mov_b32_e32 v73, v69
	v_pk_fma_f32 v[70:71], v[150:151], 2.0, v[72:73] op_sel_hi:[1,0,1] neg_lo:[0,0,1] neg_hi:[0,0,1]
	v_pk_fma_f32 v[64:65], v[64:65], 2.0, v[148:149] op_sel_hi:[1,0,1] neg_lo:[0,0,1] neg_hi:[0,0,1]
	;; [unrolled: 1-line block ×3, first 2 shown]
	v_pk_fma_f32 v[144:145], v[64:65], s[10:11], v[70:71] op_sel_hi:[1,0,1] neg_lo:[1,0,0] neg_hi:[1,0,0]
	v_pk_mul_f32 v[64:65], v[64:65], s[12:13] op_sel_hi:[1,0]
	v_fmac_f32_e32 v63, 0x3f6c835e, v154
	v_pk_add_f32 v[150:151], v[144:145], v[64:65] op_sel:[0,1] op_sel_hi:[1,0] neg_lo:[0,1] neg_hi:[0,1]
	v_pk_add_f32 v[64:65], v[144:145], v[64:65] op_sel:[0,1] op_sel_hi:[1,0]
	v_fma_f32 v50, v152, 2.0, -v62
	v_mov_b32_e32 v151, v65
	v_pk_fma_f32 v[64:65], v[70:71], 2.0, v[150:151] op_sel_hi:[1,0,1] neg_lo:[0,0,1] neg_hi:[0,0,1]
	ds_write2_b64 v86, v[56:57], v[64:65] offset0:160 offset1:240
	v_pk_add_f32 v[56:57], v[74:75], v[146:147] op_sel:[0,1] op_sel_hi:[1,0] neg_lo:[0,1] neg_hi:[0,1]
	v_pk_add_f32 v[64:65], v[74:75], v[146:147] op_sel:[0,1] op_sel_hi:[1,0]
	v_fma_f32 v51, v51, 2.0, -v63
	v_mov_b32_e32 v57, v65
	v_pk_fma_f32 v[64:65], v[74:75], 2.0, v[56:57] op_sel_hi:[1,0,1] neg_lo:[0,0,1] neg_hi:[0,0,1]
	ds_write2_b64 v52, v[64:65], v[50:51] offset0:64 offset1:144
	v_pk_mul_f32 v[50:51], v[66:67], s[8:9] op_sel_hi:[1,0]
	v_pk_fma_f32 v[64:65], v[66:67], s[8:9], v[48:49] op_sel_hi:[1,0,1]
	v_fmamk_f32 v70, v148, 0x3f6c835e, v72
	v_fmamk_f32 v71, v139, 0x3f6c835e, v69
	v_pk_add_f32 v[66:67], v[64:65], v[50:51] op_sel:[0,1] op_sel_hi:[1,0] neg_lo:[0,1] neg_hi:[0,1]
	v_pk_add_f32 v[50:51], v[64:65], v[50:51] op_sel:[0,1] op_sel_hi:[1,0]
	v_fmac_f32_e32 v70, 0xbec3ef15, v139
	v_fmac_f32_e32 v71, 0x3ec3ef15, v148
	v_mov_b32_e32 v67, v51
	v_fma_f32 v68, v72, 2.0, -v70
	v_fma_f32 v69, v69, 2.0, -v71
	v_pk_fma_f32 v[48:49], v[48:49], 2.0, v[66:67] op_sel_hi:[1,0,1] neg_lo:[0,0,1] neg_hi:[0,0,1]
	ds_write2_b64 v16, v[48:49], v[68:69] offset0:96 offset1:176
	ds_write2_b64 v54, v[140:141], v[156:157] offset0:128 offset1:208
	;; [unrolled: 1-line block ×5, first 2 shown]
	v_lshlrev_b32_e32 v48, 3, v94
	s_waitcnt lgkmcnt(0)
	s_barrier
	global_load_dwordx2 v[56:57], v48, s[14:15]
	global_load_dwordx2 v[62:63], v48, s[14:15] offset:640
	global_load_dwordx2 v[64:65], v48, s[14:15] offset:1280
	global_load_dwordx2 v[66:67], v48, s[14:15] offset:1920
	global_load_dwordx2 v[68:69], v48, s[14:15] offset:2560
	global_load_dwordx2 v[70:71], v48, s[14:15] offset:3200
	global_load_dwordx2 v[72:73], v48, s[14:15] offset:3840
	v_mov_b32_e32 v49, 0
	v_lshl_add_u64 v[50:51], s[14:15], 0, v[48:49]
	v_add_co_u32_e64 v48, s[0:1], s0, v50
	v_mov_b32_e32 v144, v78
	s_nop 0
	v_addc_co_u32_e64 v49, s[0:1], 0, v51, s[0:1]
	global_load_dwordx2 v[74:75], v[48:49], off offset:384
	global_load_dwordx2 v[138:139], v[48:49], off offset:1664
	;; [unrolled: 1-line block ×3, first 2 shown]
	global_load_dwordx2 v[142:143], v61, s[14:15]
                                        ; kill: killed $sgpr14 killed $sgpr15
                                        ; kill: killed $vgpr61
	global_load_dwordx2 v[148:149], v[48:49], off offset:2944
	s_movk_i32 s0, 0x2000
	v_add_co_u32_e64 v152, s[0:1], s0, v50
	global_load_dwordx2 v[150:151], v[48:49], off offset:3584
	s_nop 0
	v_addc_co_u32_e64 v153, s[0:1], 0, v51, s[0:1]
	global_load_dwordx2 v[154:155], v[152:153], off offset:128
	global_load_dwordx2 v[156:157], v[152:153], off offset:768
	;; [unrolled: 1-line block ×3, first 2 shown]
	ds_read2_b64 v[48:51], v86 offset1:80
	v_mov_b32_e32 v145, v78
	v_mov_b32_e32 v78, v79
	;; [unrolled: 1-line block ×5, first 2 shown]
	s_waitcnt vmcnt(15) lgkmcnt(0)
	v_mul_f32_e32 v23, v49, v57
	v_mul_f32_e32 v153, v48, v57
	v_fma_f32 v152, v48, v56, -v23
	v_fmac_f32_e32 v153, v49, v56
	s_waitcnt vmcnt(14)
	v_mul_f32_e32 v23, v51, v63
	v_mul_f32_e32 v49, v50, v63
	v_fma_f32 v48, v50, v62, -v23
	v_fmac_f32_e32 v49, v51, v62
	ds_write2_b64 v86, v[152:153], v[48:49] offset1:80
	ds_read2_b64 v[48:51], v86 offset0:160 offset1:240
	v_mov_b32_e32 v152, v10
	v_mov_b32_e32 v153, v10
	;; [unrolled: 1-line block ×3, first 2 shown]
	s_waitcnt vmcnt(13) lgkmcnt(0)
	v_mul_f32_e32 v23, v49, v65
	v_mul_f32_e32 v57, v48, v65
	v_fma_f32 v56, v48, v64, -v23
	v_fmac_f32_e32 v57, v49, v64
	ds_read2_b64 v[62:65], v52 offset0:64 offset1:144
	s_waitcnt vmcnt(12)
	v_mul_f32_e32 v23, v51, v67
	v_mul_f32_e32 v49, v50, v67
	v_fma_f32 v48, v50, v66, -v23
	v_fmac_f32_e32 v49, v51, v66
	ds_write2_b64 v86, v[56:57], v[48:49] offset0:160 offset1:240
	ds_read2_b64 v[48:51], v16 offset0:96 offset1:176
	s_waitcnt vmcnt(11) lgkmcnt(2)
	v_mul_f32_e32 v23, v63, v69
	v_mul_f32_e32 v57, v62, v69
	v_fma_f32 v56, v62, v68, -v23
	v_fmac_f32_e32 v57, v63, v68
	s_waitcnt vmcnt(10)
	v_mul_f32_e32 v23, v65, v71
	v_mul_f32_e32 v63, v64, v71
	v_fma_f32 v62, v64, v70, -v23
	v_fmac_f32_e32 v63, v65, v70
	ds_write2_b64 v52, v[56:57], v[62:63] offset0:64 offset1:144
	s_waitcnt vmcnt(9) lgkmcnt(1)
	v_mul_f32_e32 v23, v49, v73
	v_mul_f32_e32 v57, v48, v73
	ds_read2_b64 v[62:65], v54 offset0:128 offset1:208
	v_fma_f32 v56, v48, v72, -v23
	v_fmac_f32_e32 v57, v49, v72
	s_waitcnt vmcnt(8)
	v_mul_f32_e32 v23, v51, v75
	v_mul_f32_e32 v49, v50, v75
	v_fma_f32 v48, v50, v74, -v23
	v_fmac_f32_e32 v49, v51, v74
	ds_write2_b64 v16, v[56:57], v[48:49] offset0:96 offset1:176
	ds_read2_b64 v[48:51], v53 offset0:32 offset1:112
	s_waitcnt vmcnt(5) lgkmcnt(2)
	v_mul_f32_e32 v23, v63, v143
	v_mul_f32_e32 v57, v62, v143
	v_fma_f32 v56, v62, v142, -v23
	v_fmac_f32_e32 v57, v63, v142
	v_mul_f32_e32 v23, v65, v139
	v_mul_f32_e32 v63, v64, v139
	v_fma_f32 v62, v64, v138, -v23
	v_fmac_f32_e32 v63, v65, v138
	ds_write2_b64 v54, v[56:57], v[62:63] offset0:128 offset1:208
	s_waitcnt lgkmcnt(1)
	v_mul_f32_e32 v23, v49, v141
	v_mul_f32_e32 v57, v48, v141
	ds_read2_b64 v[62:65], v17 offset0:64 offset1:144
	v_fma_f32 v56, v48, v140, -v23
	v_fmac_f32_e32 v57, v49, v140
	s_waitcnt vmcnt(4)
	v_mul_f32_e32 v23, v51, v149
	v_mul_f32_e32 v49, v50, v149
	v_fma_f32 v48, v50, v148, -v23
	v_fmac_f32_e32 v49, v51, v148
	ds_write2_b64 v53, v[56:57], v[48:49] offset0:32 offset1:112
	ds_read2_b64 v[48:51], v55 offset0:96 offset1:176
	s_waitcnt vmcnt(3) lgkmcnt(2)
	v_mul_f32_e32 v23, v63, v151
	v_mul_f32_e32 v57, v62, v151
	v_fma_f32 v56, v62, v150, -v23
	v_fmac_f32_e32 v57, v63, v150
	s_waitcnt vmcnt(2)
	v_mul_f32_e32 v23, v65, v155
	v_mul_f32_e32 v63, v64, v155
	v_fma_f32 v62, v64, v154, -v23
	v_fmac_f32_e32 v63, v65, v154
	ds_write2_b64 v17, v[56:57], v[62:63] offset0:64 offset1:144
	s_waitcnt vmcnt(1) lgkmcnt(1)
	v_mul_f32_e32 v23, v49, v157
	v_mul_f32_e32 v57, v48, v157
	v_fma_f32 v56, v48, v156, -v23
	v_fmac_f32_e32 v57, v49, v156
	s_waitcnt vmcnt(0)
	v_mul_f32_e32 v23, v51, v159
	v_mul_f32_e32 v49, v50, v159
	v_fma_f32 v48, v50, v158, -v23
	v_fmac_f32_e32 v49, v51, v158
	ds_write2_b64 v55, v[56:57], v[48:49] offset0:96 offset1:176
	s_waitcnt lgkmcnt(0)
	s_barrier
	ds_read2_b64 v[48:51], v54 offset0:128 offset1:208
	ds_read2_b64 v[62:65], v17 offset0:64 offset1:144
	;; [unrolled: 1-line block ×6, first 2 shown]
	ds_read2_b64 v[154:157], v86 offset1:80
	ds_read2_b64 v[158:161], v52 offset0:64 offset1:144
	s_waitcnt lgkmcnt(4)
	v_pk_add_f32 v[16:17], v[66:67], v[70:71] neg_lo:[0,1] neg_hi:[0,1]
	v_pk_add_f32 v[72:73], v[68:69], v[72:73] neg_lo:[0,1] neg_hi:[0,1]
	v_pk_fma_f32 v[56:57], v[66:67], 2.0, v[16:17] op_sel_hi:[1,0,1] neg_lo:[0,0,1] neg_hi:[0,0,1]
	s_waitcnt lgkmcnt(2)
	v_pk_add_f32 v[66:67], v[138:139], v[148:149] neg_lo:[0,1] neg_hi:[0,1]
	s_waitcnt lgkmcnt(1)
	v_pk_add_f32 v[50:51], v[156:157], v[50:51] neg_lo:[0,1] neg_hi:[0,1]
	;; [unrolled: 2-line block ×3, first 2 shown]
	v_pk_add_f32 v[142:143], v[140:141], v[150:151] neg_lo:[0,1] neg_hi:[0,1]
	v_pk_fma_f32 v[70:71], v[138:139], 2.0, v[66:67] op_sel_hi:[1,0,1] neg_lo:[0,0,1] neg_hi:[0,0,1]
	v_pk_fma_f32 v[74:75], v[156:157], 2.0, v[50:51] op_sel_hi:[1,0,1] neg_lo:[0,0,1] neg_hi:[0,0,1]
	;; [unrolled: 1-line block ×5, first 2 shown]
	v_pk_add_f32 v[48:49], v[154:155], v[48:49] neg_lo:[0,1] neg_hi:[0,1]
	v_pk_add_f32 v[62:63], v[158:159], v[62:63] neg_lo:[0,1] neg_hi:[0,1]
	;; [unrolled: 1-line block ×4, first 2 shown]
	v_pk_fma_f32 v[138:139], v[154:155], 2.0, v[48:49] op_sel_hi:[1,0,1] neg_lo:[0,0,1] neg_hi:[0,0,1]
	v_pk_fma_f32 v[140:141], v[158:159], 2.0, v[62:63] op_sel_hi:[1,0,1] neg_lo:[0,0,1] neg_hi:[0,0,1]
	v_pk_add_f32 v[70:71], v[56:57], v[70:71] neg_lo:[0,1] neg_hi:[0,1]
	v_pk_add_f32 v[154:155], v[138:139], v[140:141] neg_lo:[0,1] neg_hi:[0,1]
	v_pk_fma_f32 v[56:57], v[56:57], 2.0, v[70:71] op_sel_hi:[1,0,1] neg_lo:[0,0,1] neg_hi:[0,0,1]
	v_pk_fma_f32 v[140:141], v[138:139], 2.0, v[154:155] op_sel_hi:[1,0,1] neg_lo:[0,0,1] neg_hi:[0,0,1]
	;; [unrolled: 1-line block ×4, first 2 shown]
	v_pk_add_f32 v[156:157], v[48:49], v[62:63] op_sel:[0,1] op_sel_hi:[1,0]
	v_pk_add_f32 v[62:63], v[48:49], v[62:63] op_sel:[0,1] op_sel_hi:[1,0] neg_lo:[0,1] neg_hi:[0,1]
	v_pk_add_f32 v[56:57], v[140:141], v[56:57] neg_lo:[0,1] neg_hi:[0,1]
	v_pk_add_f32 v[68:69], v[74:75], v[68:69] neg_lo:[0,1] neg_hi:[0,1]
	v_mov_b32_e32 v159, v56
	v_mov_b32_e32 v62, v57
	v_pk_fma_f32 v[74:75], v[74:75], 2.0, v[68:69] op_sel_hi:[1,0,1] neg_lo:[0,0,1] neg_hi:[0,0,1]
	v_pk_add_f32 v[160:161], v[158:159], v[68:69]
	v_pk_add_f32 v[162:163], v[62:63], v[68:69] neg_lo:[0,1] neg_hi:[0,1]
	v_pk_add_f32 v[68:69], v[16:17], v[66:67] op_sel:[0,1] op_sel_hi:[1,0]
	v_pk_add_f32 v[66:67], v[16:17], v[66:67] op_sel:[0,1] op_sel_hi:[1,0] neg_lo:[0,1] neg_hi:[0,1]
	v_pk_add_f32 v[138:139], v[72:73], v[142:143] op_sel:[0,1] op_sel_hi:[1,0]
	v_mov_b32_e32 v69, v67
	v_pk_add_f32 v[66:67], v[50:51], v[64:65] op_sel:[0,1] op_sel_hi:[1,0]
	v_pk_add_f32 v[64:65], v[50:51], v[64:65] op_sel:[0,1] op_sel_hi:[1,0] neg_lo:[0,1] neg_hi:[0,1]
	v_pk_add_f32 v[142:143], v[72:73], v[142:143] op_sel:[0,1] op_sel_hi:[1,0] neg_lo:[0,1] neg_hi:[0,1]
	v_mov_b32_e32 v67, v65
	v_mov_b32_e32 v139, v143
	v_pk_fma_f32 v[50:51], v[50:51], 2.0, v[66:67] op_sel_hi:[1,0,1] neg_lo:[0,0,1] neg_hi:[0,0,1]
	v_pk_fma_f32 v[72:73], v[72:73], 2.0, v[138:139] op_sel_hi:[1,0,1] neg_lo:[0,0,1] neg_hi:[0,0,1]
	v_mov_b32_e32 v157, v63
	v_pk_mul_f32 v[166:167], v[72:73], s[8:9] op_sel_hi:[1,0]
	v_pk_fma_f32 v[72:73], v[72:73], s[8:9], v[50:51] op_sel_hi:[1,0,1] neg_lo:[1,0,0] neg_hi:[1,0,0]
	v_pk_fma_f32 v[16:17], v[16:17], 2.0, v[68:69] op_sel_hi:[1,0,1] neg_lo:[0,0,1] neg_hi:[0,0,1]
	v_pk_add_f32 v[168:169], v[72:73], v[166:167] op_sel:[0,1] op_sel_hi:[1,0]
	v_pk_add_f32 v[72:73], v[72:73], v[166:167] op_sel:[0,1] op_sel_hi:[1,0] neg_lo:[0,1] neg_hi:[0,1]
	v_pk_fma_f32 v[166:167], v[48:49], 2.0, v[156:157] op_sel_hi:[1,0,1] neg_lo:[0,0,1] neg_hi:[0,0,1]
	v_pk_mul_f32 v[142:143], v[16:17], s[8:9] op_sel_hi:[1,0]
	v_pk_fma_f32 v[16:17], v[16:17], s[8:9], v[166:167] op_sel_hi:[1,0,1] neg_lo:[1,0,0] neg_hi:[1,0,0]
	v_pk_fma_f32 v[48:49], v[68:69], s[8:9], v[156:157] op_sel_hi:[1,0,1]
	v_pk_add_f32 v[170:171], v[16:17], v[142:143] op_sel:[0,1] op_sel_hi:[1,0]
	v_pk_add_f32 v[142:143], v[16:17], v[142:143] op_sel:[0,1] op_sel_hi:[1,0] neg_lo:[0,1] neg_hi:[0,1]
	v_pk_mul_f32 v[16:17], v[68:69], s[8:9] op_sel_hi:[1,0]
	v_mov_b32_e32 v169, v73
	v_pk_add_f32 v[172:173], v[48:49], v[16:17] op_sel:[0,1] op_sel_hi:[1,0]
	v_pk_add_f32 v[68:69], v[48:49], v[16:17] op_sel:[0,1] op_sel_hi:[1,0] neg_lo:[0,1] neg_hi:[0,1]
	v_pk_mul_f32 v[16:17], v[138:139], s[8:9] op_sel_hi:[1,0]
	v_pk_fma_f32 v[48:49], v[138:139], s[8:9], v[66:67] op_sel_hi:[1,0,1]
	v_mov_b32_e32 v171, v143
	v_pk_add_f32 v[174:175], v[48:49], v[16:17] op_sel:[0,1] op_sel_hi:[1,0]
	v_pk_add_f32 v[16:17], v[48:49], v[16:17] op_sel:[0,1] op_sel_hi:[1,0] neg_lo:[0,1] neg_hi:[0,1]
	v_fma_f32 v27, v66, 2.0, -v174
	v_fma_f32 v23, v65, 2.0, -v17
	v_mov_b32_e32 v175, v17
	v_pk_fma_f32 v[16:17], v[50:51], 2.0, v[168:169] op_sel_hi:[1,0,1] neg_lo:[0,0,1] neg_hi:[0,0,1]
	v_pk_fma_f32 v[66:67], v[166:167], 2.0, v[170:171] op_sel_hi:[1,0,1] neg_lo:[0,0,1] neg_hi:[0,0,1]
	v_fma_f32 v158, v63, 2.0, -v69
	v_pk_fma_f32 v[62:63], v[140:141], 2.0, v[56:57] op_sel_hi:[1,0,1] neg_lo:[0,0,1] neg_hi:[0,0,1]
	v_pk_mul_f32 v[64:65], v[16:17], s[10:11] op_sel_hi:[1,0]
	v_pk_fma_f32 v[16:17], v[16:17], s[12:13], v[66:67] op_sel_hi:[1,0,1] neg_lo:[1,0,0] neg_hi:[1,0,0]
	v_pk_add_f32 v[48:49], v[62:63], v[74:75] neg_lo:[0,1] neg_hi:[0,1]
	v_pk_add_f32 v[50:51], v[16:17], v[64:65] op_sel:[0,1] op_sel_hi:[1,0]
	v_pk_add_f32 v[74:75], v[16:17], v[64:65] op_sel:[0,1] op_sel_hi:[1,0] neg_lo:[0,1] neg_hi:[0,1]
	v_pk_fma_f32 v[62:63], v[62:63], 2.0, v[48:49] op_sel_hi:[1,0,1] neg_lo:[0,0,1] neg_hi:[0,0,1]
	v_mov_b32_e32 v51, v75
	v_pk_fma_f32 v[64:65], v[66:67], 2.0, v[50:51] op_sel_hi:[1,0,1] neg_lo:[0,0,1] neg_hi:[0,0,1]
	s_barrier
	ds_write_b128 v60, v[62:65]
	v_pk_add_f32 v[62:63], v[148:149], v[150:151] op_sel:[0,1] op_sel_hi:[1,0]
	v_pk_add_f32 v[150:151], v[148:149], v[150:151] op_sel:[0,1] op_sel_hi:[1,0] neg_lo:[0,1] neg_hi:[0,1]
	v_mov_b32_e32 v173, v69
	v_mov_b32_e32 v63, v151
	v_pk_fma_f32 v[64:65], v[148:149], 2.0, v[62:63] op_sel_hi:[1,0,1] neg_lo:[0,0,1] neg_hi:[0,0,1]
	v_pk_add_f32 v[148:149], v[154:155], v[70:71] op_sel:[0,1] op_sel_hi:[1,0]
	v_pk_add_f32 v[70:71], v[154:155], v[70:71] op_sel:[0,1] op_sel_hi:[1,0] neg_lo:[0,1] neg_hi:[0,1]
	v_mov_b32_e32 v138, v25
	v_fma_f32 v25, v156, 2.0, -v172
	v_pk_fma_f32 v[140:141], v[174:175], s[12:13], v[172:173] op_sel_hi:[1,0,1]
	v_pk_mul_f32 v[156:157], v[174:175], s[10:11] op_sel_hi:[1,0]
	v_mov_b32_e32 v149, v71
	v_pk_add_f32 v[16:17], v[140:141], v[156:157] op_sel:[0,1] op_sel_hi:[1,0]
	v_pk_add_f32 v[156:157], v[140:141], v[156:157] op_sel:[0,1] op_sel_hi:[1,0] neg_lo:[0,1] neg_hi:[0,1]
	v_pk_fma_f32 v[154:155], v[154:155], 2.0, v[148:149] op_sel_hi:[1,0,1] neg_lo:[0,0,1] neg_hi:[0,0,1]
	v_fma_f32 v17, v69, 2.0, -v157
	v_pk_mul_f32 v[68:69], v[64:65], s[8:9] op_sel_hi:[1,0]
	v_pk_fma_f32 v[166:167], v[64:65], s[8:9], v[154:155] op_sel_hi:[1,0,1] neg_lo:[1,0,0] neg_hi:[1,0,0]
	v_fmamk_f32 v66, v27, 0xbec3ef15, v25
	v_pk_add_f32 v[64:65], v[166:167], v[68:69] op_sel:[0,1] op_sel_hi:[1,0]
	v_pk_add_f32 v[166:167], v[166:167], v[68:69] op_sel:[0,1] op_sel_hi:[1,0] neg_lo:[0,1] neg_hi:[0,1]
	v_fmamk_f32 v163, v168, 0x3ec3ef15, v170
	v_fmamk_f32 v160, v23, 0xbec3ef15, v158
	v_fmac_f32_e32 v66, 0x3f6c835e, v23
	v_mov_b32_e32 v65, v167
	v_fmac_f32_e32 v163, 0x3f6c835e, v73
	v_mov_b32_e32 v56, v57
	v_mov_b32_e32 v57, v170
	v_fmac_f32_e32 v160, 0xbf6c835e, v27
	v_fma_f32 v70, v25, 2.0, -v66
	v_pk_fma_f32 v[68:69], v[154:155], 2.0, v[64:65] op_sel_hi:[1,0,1] neg_lo:[0,0,1] neg_hi:[0,0,1]
	v_pk_fma_f32 v[56:57], v[56:57], 2.0, v[162:163] op_sel_hi:[1,0,1] neg_lo:[0,0,1] neg_hi:[0,0,1]
	ds_write_b96 v60, v[68:70] offset:16
	v_pk_fma_f32 v[68:69], v[158:159], 2.0, v[160:161] op_sel_hi:[1,0,1] neg_lo:[0,0,1] neg_hi:[0,0,1]
	ds_write2_b32 v58, v56, v57 offset0:8 offset1:9
	v_mov_b32_e32 v56, v73
	v_mov_b32_e32 v57, v62
	s_mov_b32 s11, s8
	v_mov_b32_e32 v62, v143
	v_mov_b32_e32 v63, v148
	ds_write2_b32 v60, v68, v69 offset0:7 offset1:8
	v_mov_b32_e32 v169, v151
	s_mov_b32 s13, s8
	v_pk_fma_f32 v[68:69], v[56:57], s[10:11], v[62:63]
	v_pk_fma_f32 v[72:73], v[168:169], s[12:13], v[148:149]
	v_pk_fma_f32 v[148:149], v[168:169], s[12:13], v[68:69] neg_lo:[1,0,0] neg_hi:[1,0,0]
	v_pk_fma_f32 v[68:69], v[168:169], s[12:13], v[68:69]
	v_pk_fma_f32 v[56:57], v[56:57], s[10:11], v[72:73] neg_lo:[1,0,0] neg_hi:[1,0,0]
	v_mov_b32_e32 v149, v69
	v_pk_fma_f32 v[62:63], v[62:63], 2.0, v[148:149] op_sel_hi:[1,0,1] neg_lo:[0,0,1] neg_hi:[0,0,1]
	ds_write2_b32 v58, v62, v63 offset0:10 offset1:11
	v_mov_b32_e32 v62, v71
	v_mov_b32_e32 v63, v172
	v_mov_b32_e32 v68, v57
	v_mov_b32_e32 v69, v16
	v_pk_fma_f32 v[62:63], v[62:63], 2.0, v[68:69] op_sel_hi:[1,0,1] neg_lo:[0,0,1] neg_hi:[0,0,1]
	ds_write2_b32 v58, v62, v63 offset0:12 offset1:13
	ds_write_b128 v60, v[48:51] offset:64
	ds_write_b96 v60, v[64:66] offset:80
	ds_write2_b32 v60, v160, v161 offset0:23 offset1:24
	ds_write2_b32 v58, v162, v163 offset0:24 offset1:25
	ds_write2_b32 v58, v148, v149 offset0:26 offset1:27
	ds_write2_b32 v58, v17, v57 offset0:14 offset1:28
	v_mov_b32_e32 v17, v157
	ds_write_b64 v60, v[16:17] offset:120
	v_add_u32_e32 v17, 0x400, v86
	s_waitcnt lgkmcnt(0)
	s_barrier
	ds_read2_b64 v[64:67], v86 offset1:80
	ds_read2_b64 v[48:51], v17 offset0:32 offset1:128
	ds_read2_b64 v[72:75], v54 offset1:80
	v_add_u32_e32 v17, 0x1400, v86
	ds_read2_b64 v[56:59], v17 offset0:32 offset1:128
	ds_read2_b64 v[68:71], v55 offset1:80
	ds_read2_b64 v[60:63], v52 offset0:80 offset1:160
	ds_read2_b64 v[52:55], v53 offset0:80 offset1:160
	ds_read_b64 v[162:163], v86 offset:9472
	v_mov_b32_e32 v140, v33
	v_mov_b32_e32 v142, v41
	v_mov_b32_e32 v158, v45
	v_mov_b32_e32 v148, v21
	v_mov_b32_e32 v150, v29
	v_mov_b32_e32 v154, v37
	s_and_saveexec_b64 s[0:1], vcc
	s_cbranch_execz .LBB0_7
; %bb.6:
	v_add_u32_e32 v12, 0x180, v86
	ds_read2st64_b64 v[16:19], v12 offset0:3 offset1:7
	ds_read2st64_b64 v[12:15], v12 offset0:11 offset1:15
	ds_read_b64 v[122:123], v86 offset:10112
	s_waitcnt lgkmcnt(2)
	v_mov_b32_e32 v157, v17
.LBB0_7:
	s_or_b64 exec, exec, s[0:1]
	s_waitcnt lgkmcnt(6)
	v_pk_mul_f32 v[166:167], v[144:145], v[50:51]
	s_waitcnt lgkmcnt(5)
	v_pk_mul_f32 v[168:169], v[146:147], v[72:73]
	v_pk_fma_f32 v[182:183], v[76:77], v[50:51], v[166:167] op_sel:[0,0,1] op_sel_hi:[1,1,0]
	v_pk_fma_f32 v[50:51], v[76:77], v[50:51], v[166:167] op_sel:[0,0,1] op_sel_hi:[1,1,0] neg_lo:[0,0,1] neg_hi:[0,0,1]
	s_waitcnt lgkmcnt(4)
	v_pk_mul_f32 v[170:171], v[152:153], v[58:59]
	v_mov_b32_e32 v183, v51
	v_pk_fma_f32 v[50:51], v[78:79], v[72:73], v[168:169] op_sel:[0,0,1] op_sel_hi:[1,1,0]
	v_pk_fma_f32 v[72:73], v[78:79], v[72:73], v[168:169] op_sel:[0,0,1] op_sel_hi:[1,1,0] neg_lo:[0,0,1] neg_hi:[0,0,1]
	s_waitcnt lgkmcnt(3)
	v_pk_mul_f32 v[172:173], v[118:119], v[68:69]
	v_mov_b32_e32 v51, v73
	v_pk_fma_f32 v[72:73], v[8:9], v[58:59], v[170:171] op_sel:[0,0,1] op_sel_hi:[1,1,0]
	v_pk_fma_f32 v[58:59], v[8:9], v[58:59], v[170:171] op_sel:[0,0,1] op_sel_hi:[1,1,0] neg_lo:[0,0,1] neg_hi:[0,0,1]
	s_mov_b32 s0, 0x3f737871
	v_mov_b32_e32 v73, v59
	v_pk_fma_f32 v[58:59], v[10:11], v[68:69], v[172:173] op_sel:[0,0,1] op_sel_hi:[1,1,0]
	v_pk_fma_f32 v[68:69], v[10:11], v[68:69], v[172:173] op_sel:[0,0,1] op_sel_hi:[1,1,0] neg_lo:[0,0,1] neg_hi:[0,0,1]
	v_pk_add_f32 v[166:167], v[50:51], v[72:73]
	v_mov_b32_e32 v59, v69
	v_pk_add_f32 v[168:169], v[182:183], v[58:59] neg_lo:[0,1] neg_hi:[0,1]
	v_pk_fma_f32 v[166:167], v[166:167], 0.5, v[64:65] op_sel_hi:[1,0,1] neg_lo:[1,0,0] neg_hi:[1,0,0]
	v_pk_mul_f32 v[170:171], v[168:169], s[0:1] op_sel_hi:[1,0]
	v_pk_add_f32 v[172:173], v[50:51], v[72:73] neg_lo:[0,1] neg_hi:[0,1]
	s_mov_b32 s8, 0x3f167918
	v_pk_add_f32 v[186:187], v[182:183], v[50:51] neg_lo:[0,1] neg_hi:[0,1]
	v_pk_add_f32 v[188:189], v[58:59], v[72:73] neg_lo:[0,1] neg_hi:[0,1]
	v_pk_add_f32 v[68:69], v[64:65], v[182:183]
	v_pk_mul_f32 v[184:185], v[172:173], s[8:9] op_sel_hi:[1,0]
	v_pk_add_f32 v[186:187], v[186:187], v[188:189]
	v_pk_add_f32 v[188:189], v[166:167], v[170:171] op_sel:[0,1] op_sel_hi:[1,0] neg_lo:[0,1] neg_hi:[0,1]
	v_pk_add_f32 v[166:167], v[166:167], v[170:171] op_sel:[0,1] op_sel_hi:[1,0]
	v_pk_add_f32 v[68:69], v[68:69], v[50:51]
	v_pk_add_f32 v[166:167], v[166:167], v[184:185] op_sel:[0,1] op_sel_hi:[1,0]
	v_pk_add_f32 v[170:171], v[188:189], v[184:185] op_sel:[0,1] op_sel_hi:[1,0] neg_lo:[0,1] neg_hi:[0,1]
	v_pk_add_f32 v[68:69], v[68:69], v[72:73]
	s_mov_b32 s10, 0x3e9e377a
	v_mov_b32_e32 v184, v170
	v_mov_b32_e32 v185, v167
	v_pk_add_f32 v[68:69], v[68:69], v[58:59]
	v_pk_fma_f32 v[184:185], v[186:187], s[10:11], v[184:185] op_sel_hi:[1,0,1]
	s_waitcnt lgkmcnt(0)
	s_barrier
	ds_write2_b64 v91, v[68:69], v[184:185] offset1:16
	v_pk_add_f32 v[68:69], v[182:183], v[58:59]
	v_pk_add_f32 v[50:51], v[50:51], v[182:183] neg_lo:[0,1] neg_hi:[0,1]
	v_pk_add_f32 v[58:59], v[72:73], v[58:59] neg_lo:[0,1] neg_hi:[0,1]
	v_pk_fma_f32 v[64:65], v[68:69], 0.5, v[64:65] op_sel_hi:[1,0,1] neg_lo:[1,0,0] neg_hi:[1,0,0]
	v_pk_add_f32 v[50:51], v[50:51], v[58:59]
	v_pk_mul_f32 v[58:59], v[172:173], s[0:1] op_sel_hi:[1,0]
	v_pk_mul_f32 v[68:69], v[168:169], s[8:9] op_sel_hi:[1,0]
	v_pk_add_f32 v[72:73], v[64:65], v[58:59] op_sel:[0,1] op_sel_hi:[1,0]
	v_pk_add_f32 v[58:59], v[64:65], v[58:59] op_sel:[0,1] op_sel_hi:[1,0] neg_lo:[0,1] neg_hi:[0,1]
	v_pk_add_f32 v[64:65], v[72:73], v[68:69] op_sel:[0,1] op_sel_hi:[1,0] neg_lo:[0,1] neg_hi:[0,1]
	v_pk_add_f32 v[58:59], v[58:59], v[68:69] op_sel:[0,1] op_sel_hi:[1,0]
	v_mov_b32_e32 v68, v64
	v_mov_b32_e32 v69, v59
	;; [unrolled: 1-line block ×3, first 2 shown]
	v_pk_fma_f32 v[68:69], v[50:51], s[10:11], v[68:69] op_sel_hi:[1,0,1]
	v_pk_fma_f32 v[50:51], v[50:51], s[10:11], v[58:59] op_sel_hi:[1,0,1]
	v_mov_b32_e32 v167, v171
	v_pk_mul_f32 v[174:175], v[144:145], v[60:61]
	ds_write2_b64 v91, v[68:69], v[50:51] offset0:32 offset1:48
	v_pk_fma_f32 v[50:51], v[186:187], s[10:11], v[166:167] op_sel_hi:[1,0,1]
	v_pk_mul_f32 v[176:177], v[146:147], v[74:75]
	ds_write_b64 v91, v[50:51] offset:512
	v_pk_fma_f32 v[50:51], v[76:77], v[60:61], v[174:175] op_sel:[0,0,1] op_sel_hi:[1,1,0]
	v_pk_fma_f32 v[58:59], v[76:77], v[60:61], v[174:175] op_sel:[0,0,1] op_sel_hi:[1,1,0] neg_lo:[0,0,1] neg_hi:[0,0,1]
	v_pk_mul_f32 v[178:179], v[152:153], v[52:53]
	v_mov_b32_e32 v51, v59
	v_pk_fma_f32 v[58:59], v[78:79], v[74:75], v[176:177] op_sel:[0,0,1] op_sel_hi:[1,1,0]
	v_pk_fma_f32 v[60:61], v[78:79], v[74:75], v[176:177] op_sel:[0,0,1] op_sel_hi:[1,1,0] neg_lo:[0,0,1] neg_hi:[0,0,1]
	v_pk_mul_f32 v[180:181], v[118:119], v[70:71]
	v_mov_b32_e32 v59, v61
	v_pk_fma_f32 v[60:61], v[8:9], v[52:53], v[178:179] op_sel:[0,0,1] op_sel_hi:[1,1,0]
	v_pk_fma_f32 v[52:53], v[8:9], v[52:53], v[178:179] op_sel:[0,0,1] op_sel_hi:[1,1,0] neg_lo:[0,0,1] neg_hi:[0,0,1]
	v_pk_fma_f32 v[64:65], v[10:11], v[70:71], v[180:181] op_sel:[0,0,1] op_sel_hi:[1,1,0] neg_lo:[0,0,1] neg_hi:[0,0,1]
	v_mov_b32_e32 v61, v53
	v_pk_fma_f32 v[52:53], v[10:11], v[70:71], v[180:181] op_sel:[0,0,1] op_sel_hi:[1,1,0]
	v_pk_add_f32 v[68:69], v[58:59], v[60:61]
	v_mov_b32_e32 v53, v65
	v_pk_add_f32 v[70:71], v[50:51], v[52:53] neg_lo:[0,1] neg_hi:[0,1]
	v_pk_fma_f32 v[68:69], v[68:69], 0.5, v[66:67] op_sel_hi:[1,0,1] neg_lo:[1,0,0] neg_hi:[1,0,0]
	v_pk_mul_f32 v[72:73], v[70:71], s[0:1] op_sel_hi:[1,0]
	v_pk_add_f32 v[74:75], v[58:59], v[60:61] neg_lo:[0,1] neg_hi:[0,1]
	v_pk_add_f32 v[168:169], v[50:51], v[58:59] neg_lo:[0,1] neg_hi:[0,1]
	;; [unrolled: 1-line block ×3, first 2 shown]
	v_pk_add_f32 v[64:65], v[66:67], v[50:51]
	v_pk_mul_f32 v[166:167], v[74:75], s[8:9] op_sel_hi:[1,0]
	v_pk_add_f32 v[168:169], v[168:169], v[170:171]
	v_pk_add_f32 v[170:171], v[68:69], v[72:73] op_sel:[0,1] op_sel_hi:[1,0] neg_lo:[0,1] neg_hi:[0,1]
	v_pk_add_f32 v[68:69], v[68:69], v[72:73] op_sel:[0,1] op_sel_hi:[1,0]
	v_pk_add_f32 v[64:65], v[64:65], v[58:59]
	v_pk_add_f32 v[68:69], v[68:69], v[166:167] op_sel:[0,1] op_sel_hi:[1,0]
	v_pk_add_f32 v[72:73], v[170:171], v[166:167] op_sel:[0,1] op_sel_hi:[1,0] neg_lo:[0,1] neg_hi:[0,1]
	v_pk_add_f32 v[64:65], v[64:65], v[60:61]
	v_mov_b32_e32 v166, v72
	v_mov_b32_e32 v167, v69
	v_pk_add_f32 v[64:65], v[64:65], v[52:53]
	v_pk_fma_f32 v[166:167], v[168:169], s[10:11], v[166:167] op_sel_hi:[1,0,1]
	ds_write2_b64 v164, v[64:65], v[166:167] offset1:16
	v_pk_add_f32 v[64:65], v[50:51], v[52:53]
	v_pk_add_f32 v[50:51], v[58:59], v[50:51] neg_lo:[0,1] neg_hi:[0,1]
	v_pk_add_f32 v[52:53], v[60:61], v[52:53] neg_lo:[0,1] neg_hi:[0,1]
	v_pk_fma_f32 v[64:65], v[64:65], 0.5, v[66:67] op_sel_hi:[1,0,1] neg_lo:[1,0,0] neg_hi:[1,0,0]
	v_pk_add_f32 v[50:51], v[50:51], v[52:53]
	v_pk_mul_f32 v[52:53], v[74:75], s[0:1] op_sel_hi:[1,0]
	v_pk_mul_f32 v[58:59], v[70:71], s[8:9] op_sel_hi:[1,0]
	v_pk_add_f32 v[60:61], v[64:65], v[52:53] op_sel:[0,1] op_sel_hi:[1,0]
	v_pk_add_f32 v[52:53], v[64:65], v[52:53] op_sel:[0,1] op_sel_hi:[1,0] neg_lo:[0,1] neg_hi:[0,1]
	v_mov_b32_e32 v69, v73
	v_pk_add_f32 v[52:53], v[52:53], v[58:59] op_sel:[0,1] op_sel_hi:[1,0]
	v_pk_add_f32 v[58:59], v[60:61], v[58:59] op_sel:[0,1] op_sel_hi:[1,0] neg_lo:[0,1] neg_hi:[0,1]
	v_mov_b32_e32 v61, v53
	v_mov_b32_e32 v60, v58
	;; [unrolled: 1-line block ×3, first 2 shown]
	v_pk_fma_f32 v[60:61], v[50:51], s[10:11], v[60:61] op_sel_hi:[1,0,1]
	v_pk_fma_f32 v[50:51], v[50:51], s[10:11], v[52:53] op_sel_hi:[1,0,1]
	v_pk_mul_f32 v[144:145], v[144:145], v[62:63]
	ds_write2_b64 v164, v[60:61], v[50:51] offset0:32 offset1:48
	v_pk_fma_f32 v[50:51], v[168:169], s[10:11], v[68:69] op_sel_hi:[1,0,1]
	v_pk_mul_f32 v[146:147], v[146:147], v[56:57]
	ds_write_b64 v164, v[50:51] offset:512
	v_pk_fma_f32 v[50:51], v[76:77], v[62:63], v[144:145] op_sel:[0,0,1] op_sel_hi:[1,1,0]
	v_pk_fma_f32 v[52:53], v[76:77], v[62:63], v[144:145] op_sel:[0,0,1] op_sel_hi:[1,1,0] neg_lo:[0,0,1] neg_hi:[0,0,1]
	v_pk_mul_f32 v[152:153], v[152:153], v[54:55]
	v_mov_b32_e32 v51, v53
	v_pk_fma_f32 v[52:53], v[78:79], v[56:57], v[146:147] op_sel:[0,0,1] op_sel_hi:[1,1,0]
	v_pk_fma_f32 v[56:57], v[78:79], v[56:57], v[146:147] op_sel:[0,0,1] op_sel_hi:[1,1,0] neg_lo:[0,0,1] neg_hi:[0,0,1]
	v_pk_mul_f32 v[118:119], v[118:119], v[162:163]
	v_mov_b32_e32 v53, v57
	v_pk_fma_f32 v[56:57], v[8:9], v[54:55], v[152:153] op_sel:[0,0,1] op_sel_hi:[1,1,0]
	v_pk_fma_f32 v[8:9], v[8:9], v[54:55], v[152:153] op_sel:[0,0,1] op_sel_hi:[1,1,0] neg_lo:[0,0,1] neg_hi:[0,0,1]
	v_pk_add_f32 v[66:67], v[50:51], v[52:53] neg_lo:[0,1] neg_hi:[0,1]
	v_mov_b32_e32 v57, v9
	v_pk_fma_f32 v[8:9], v[10:11], v[162:163], v[118:119] op_sel:[0,0,1] op_sel_hi:[1,1,0]
	v_pk_fma_f32 v[10:11], v[10:11], v[162:163], v[118:119] op_sel:[0,0,1] op_sel_hi:[1,1,0] neg_lo:[0,0,1] neg_hi:[0,0,1]
	v_pk_add_f32 v[54:55], v[52:53], v[56:57]
	v_mov_b32_e32 v9, v11
	v_pk_add_f32 v[58:59], v[50:51], v[8:9] neg_lo:[0,1] neg_hi:[0,1]
	v_pk_fma_f32 v[54:55], v[54:55], 0.5, v[48:49] op_sel_hi:[1,0,1] neg_lo:[1,0,0] neg_hi:[1,0,0]
	v_pk_mul_f32 v[60:61], v[58:59], s[0:1] op_sel_hi:[1,0]
	v_pk_add_f32 v[62:63], v[52:53], v[56:57] neg_lo:[0,1] neg_hi:[0,1]
	v_pk_add_f32 v[68:69], v[8:9], v[56:57] neg_lo:[0,1] neg_hi:[0,1]
	v_pk_add_f32 v[10:11], v[48:49], v[50:51]
	v_pk_mul_f32 v[64:65], v[62:63], s[8:9] op_sel_hi:[1,0]
	v_pk_add_f32 v[66:67], v[66:67], v[68:69]
	v_pk_add_f32 v[68:69], v[54:55], v[60:61] op_sel:[0,1] op_sel_hi:[1,0] neg_lo:[0,1] neg_hi:[0,1]
	v_pk_add_f32 v[54:55], v[54:55], v[60:61] op_sel:[0,1] op_sel_hi:[1,0]
	v_pk_add_f32 v[10:11], v[10:11], v[52:53]
	v_pk_add_f32 v[54:55], v[54:55], v[64:65] op_sel:[0,1] op_sel_hi:[1,0]
	v_pk_add_f32 v[60:61], v[68:69], v[64:65] op_sel:[0,1] op_sel_hi:[1,0] neg_lo:[0,1] neg_hi:[0,1]
	v_pk_add_f32 v[10:11], v[10:11], v[56:57]
	v_mov_b32_e32 v64, v60
	v_mov_b32_e32 v65, v55
	v_pk_add_f32 v[10:11], v[10:11], v[8:9]
	v_pk_fma_f32 v[64:65], v[66:67], s[10:11], v[64:65] op_sel_hi:[1,0,1]
	ds_write2_b64 v95, v[10:11], v[64:65] offset1:16
	v_pk_add_f32 v[10:11], v[50:51], v[8:9]
	v_pk_add_f32 v[8:9], v[56:57], v[8:9] neg_lo:[0,1] neg_hi:[0,1]
	v_pk_fma_f32 v[10:11], v[10:11], 0.5, v[48:49] op_sel_hi:[1,0,1] neg_lo:[1,0,0] neg_hi:[1,0,0]
	v_pk_add_f32 v[48:49], v[52:53], v[50:51] neg_lo:[0,1] neg_hi:[0,1]
	v_pk_mul_f32 v[50:51], v[58:59], s[8:9] op_sel_hi:[1,0]
	v_pk_add_f32 v[8:9], v[48:49], v[8:9]
	v_pk_mul_f32 v[48:49], v[62:63], s[0:1] op_sel_hi:[1,0]
	v_mov_b32_e32 v55, v61
	v_pk_add_f32 v[52:53], v[10:11], v[48:49] op_sel:[0,1] op_sel_hi:[1,0]
	v_pk_add_f32 v[10:11], v[10:11], v[48:49] op_sel:[0,1] op_sel_hi:[1,0] neg_lo:[0,1] neg_hi:[0,1]
	v_pk_add_f32 v[48:49], v[52:53], v[50:51] op_sel:[0,1] op_sel_hi:[1,0] neg_lo:[0,1] neg_hi:[0,1]
	v_pk_add_f32 v[10:11], v[10:11], v[50:51] op_sel:[0,1] op_sel_hi:[1,0]
	v_mov_b32_e32 v50, v48
	v_mov_b32_e32 v51, v11
	;; [unrolled: 1-line block ×3, first 2 shown]
	v_pk_fma_f32 v[50:51], v[8:9], s[10:11], v[50:51] op_sel_hi:[1,0,1]
	v_pk_fma_f32 v[8:9], v[8:9], s[10:11], v[10:11] op_sel_hi:[1,0,1]
	v_mov_b32_e32 v45, v44
	v_mov_b32_e32 v159, v158
	;; [unrolled: 1-line block ×31, first 2 shown]
	ds_write2_b64 v95, v[50:51], v[8:9] offset0:32 offset1:48
	v_pk_fma_f32 v[8:9], v[66:67], s[10:11], v[54:55] op_sel_hi:[1,0,1]
	ds_write_b64 v95, v[8:9] offset:512
	s_and_saveexec_b64 s[12:13], vcc
	s_cbranch_execz .LBB0_9
; %bb.8:
	v_pk_mul_f32 v[8:9], v[6:7], v[12:13] op_sel:[0,1]
	v_pk_mul_f32 v[10:11], v[4:5], v[18:19] op_sel:[0,1]
	v_pk_fma_f32 v[52:53], v[6:7], v[12:13], v[8:9] op_sel:[0,0,1] op_sel_hi:[1,1,0]
	v_pk_fma_f32 v[6:7], v[6:7], v[12:13], v[8:9] op_sel:[0,0,1] op_sel_hi:[1,0,0] neg_lo:[1,0,0] neg_hi:[1,0,0]
	v_pk_mul_f32 v[48:49], v[0:1], v[14:15] op_sel:[0,1]
	v_mov_b32_e32 v53, v7
	v_pk_fma_f32 v[6:7], v[4:5], v[18:19], v[10:11] op_sel:[0,0,1] op_sel_hi:[1,1,0]
	v_pk_fma_f32 v[4:5], v[4:5], v[18:19], v[10:11] op_sel:[0,0,1] op_sel_hi:[1,0,0] neg_lo:[1,0,0] neg_hi:[1,0,0]
	v_pk_mul_f32 v[50:51], v[2:3], v[122:123] op_sel:[0,1]
	v_mov_b32_e32 v7, v5
	v_pk_fma_f32 v[4:5], v[0:1], v[14:15], v[48:49] op_sel:[0,0,1] op_sel_hi:[1,1,0]
	v_pk_fma_f32 v[0:1], v[0:1], v[14:15], v[48:49] op_sel:[0,0,1] op_sel_hi:[1,0,0] neg_lo:[1,0,0] neg_hi:[1,0,0]
	v_mov_b32_e32 v17, v157
	v_mov_b32_e32 v5, v1
	v_pk_fma_f32 v[0:1], v[2:3], v[122:123], v[50:51] op_sel:[0,0,1] op_sel_hi:[1,1,0]
	v_pk_fma_f32 v[2:3], v[2:3], v[122:123], v[50:51] op_sel:[0,0,1] op_sel_hi:[1,0,0] neg_lo:[1,0,0] neg_hi:[1,0,0]
	v_pk_add_f32 v[10:11], v[52:53], v[4:5]
	v_mov_b32_e32 v1, v3
	v_pk_add_f32 v[8:9], v[6:7], v[0:1] neg_lo:[0,1] neg_hi:[0,1]
	v_pk_fma_f32 v[10:11], v[10:11], 0.5, v[16:17] op_sel_hi:[1,0,1] neg_lo:[1,0,0] neg_hi:[1,0,0]
	v_pk_add_f32 v[12:13], v[6:7], v[52:53] neg_lo:[0,1] neg_hi:[0,1]
	v_pk_add_f32 v[14:15], v[0:1], v[4:5] neg_lo:[0,1] neg_hi:[0,1]
	;; [unrolled: 1-line block ×3, first 2 shown]
	v_pk_add_f32 v[12:13], v[12:13], v[14:15]
	v_pk_fma_f32 v[14:15], v[8:9], s[0:1], v[10:11] op_sel:[1,0,0] op_sel_hi:[0,0,1]
	v_pk_fma_f32 v[10:11], v[8:9], s[0:1], v[10:11] op_sel:[1,0,0] op_sel_hi:[0,0,1] neg_lo:[1,0,0] neg_hi:[1,0,0]
	v_pk_add_f32 v[48:49], v[16:17], v[6:7]
	v_pk_fma_f32 v[10:11], v[2:3], s[8:9], v[10:11] op_sel:[1,0,0] op_sel_hi:[0,0,1] neg_lo:[1,0,0] neg_hi:[1,0,0]
	v_pk_fma_f32 v[14:15], v[2:3], s[8:9], v[14:15] op_sel:[1,0,0] op_sel_hi:[0,0,1]
	v_pk_add_f32 v[48:49], v[48:49], v[52:53]
	v_mov_b32_e32 v18, v14
	v_mov_b32_e32 v19, v11
	v_pk_add_f32 v[48:49], v[48:49], v[4:5]
	v_mov_b32_e32 v11, v15
	v_pk_fma_f32 v[18:19], v[12:13], s[10:11], v[18:19] op_sel_hi:[1,0,1]
	v_pk_add_f32 v[48:49], v[48:49], v[0:1]
	v_pk_fma_f32 v[10:11], v[12:13], s[10:11], v[10:11] op_sel_hi:[1,0,1]
	v_add_u32_e32 v12, 0x2000, v86
	ds_write2_b64 v12, v[48:49], v[10:11] offset0:176 offset1:192
	v_pk_add_f32 v[10:11], v[6:7], v[0:1]
	v_pk_add_f32 v[0:1], v[4:5], v[0:1] neg_lo:[0,1] neg_hi:[0,1]
	v_pk_fma_f32 v[10:11], v[10:11], 0.5, v[16:17] op_sel_hi:[1,0,1] neg_lo:[1,0,0] neg_hi:[1,0,0]
	v_pk_add_f32 v[6:7], v[52:53], v[6:7] neg_lo:[0,1] neg_hi:[0,1]
	v_pk_fma_f32 v[4:5], v[2:3], s[0:1], v[10:11] op_sel:[1,0,0] op_sel_hi:[0,0,1] neg_lo:[1,0,0] neg_hi:[1,0,0]
	v_pk_fma_f32 v[2:3], v[2:3], s[0:1], v[10:11] op_sel:[1,0,0] op_sel_hi:[0,0,1]
	v_pk_fma_f32 v[2:3], v[8:9], s[8:9], v[2:3] op_sel:[1,0,0] op_sel_hi:[0,0,1] neg_lo:[1,0,0] neg_hi:[1,0,0]
	v_pk_fma_f32 v[4:5], v[8:9], s[8:9], v[4:5] op_sel:[1,0,0] op_sel_hi:[0,0,1]
	v_pk_add_f32 v[0:1], v[6:7], v[0:1]
	v_mov_b32_e32 v6, v4
	v_mov_b32_e32 v7, v3
	;; [unrolled: 1-line block ×3, first 2 shown]
	v_pk_fma_f32 v[6:7], v[0:1], s[10:11], v[6:7] op_sel_hi:[1,0,1]
	v_pk_fma_f32 v[0:1], v[0:1], s[10:11], v[2:3] op_sel_hi:[1,0,1]
	ds_write2_b64 v12, v[0:1], v[6:7] offset0:208 offset1:224
	ds_write_b64 v86, v[18:19] offset:10112
.LBB0_9:
	s_or_b64 exec, exec, s[12:13]
	s_waitcnt lgkmcnt(0)
	s_barrier
	ds_read2_b64 v[6:9], v86 offset1:80
	ds_read2_b64 v[10:13], v86 offset0:160 offset1:240
	v_add_u32_e32 v5, 0x800, v86
	ds_read2_b64 v[14:17], v5 offset0:64 offset1:144
	v_add_u32_e32 v70, 0xc00, v86
	s_waitcnt lgkmcnt(2)
	v_pk_mul_f32 v[18:19], v[158:159], v[8:9]
	ds_read2_b64 v[48:51], v70 offset0:96 offset1:176
	v_pk_fma_f32 v[68:69], v[44:45], v[8:9], v[18:19] op_sel:[0,0,1] op_sel_hi:[1,1,0]
	v_pk_fma_f32 v[8:9], v[44:45], v[8:9], v[18:19] op_sel:[0,0,1] op_sel_hi:[1,1,0] neg_lo:[0,0,1] neg_hi:[0,0,1]
	v_add_u32_e32 v71, 0x1000, v86
	v_mov_b32_e32 v69, v9
	s_waitcnt lgkmcnt(2)
	v_pk_mul_f32 v[8:9], v[136:137], v[10:11]
	ds_read2_b64 v[52:55], v71 offset0:128 offset1:208
	v_pk_fma_f32 v[18:19], v[46:47], v[10:11], v[8:9] op_sel:[0,0,1] op_sel_hi:[1,1,0]
	v_pk_fma_f32 v[8:9], v[46:47], v[10:11], v[8:9] op_sel:[0,0,1] op_sel_hi:[1,1,0] neg_lo:[0,0,1] neg_hi:[0,0,1]
	v_add_u32_e32 v72, 0x1800, v86
	v_mov_b32_e32 v19, v9
	v_pk_mul_f32 v[8:9], v[142:143], v[12:13]
	ds_read2_b64 v[56:59], v72 offset0:32 offset1:112
	v_pk_fma_f32 v[10:11], v[40:41], v[12:13], v[8:9] op_sel:[0,0,1] op_sel_hi:[1,1,0]
	v_pk_fma_f32 v[8:9], v[40:41], v[12:13], v[8:9] op_sel:[0,0,1] op_sel_hi:[1,1,0] neg_lo:[0,0,1] neg_hi:[0,0,1]
	v_add_u32_e32 v73, 0x1c00, v86
	v_mov_b32_e32 v11, v9
	s_waitcnt lgkmcnt(3)
	v_pk_mul_f32 v[8:9], v[134:135], v[14:15]
	ds_read2_b64 v[60:63], v73 offset0:64 offset1:144
	v_pk_fma_f32 v[12:13], v[42:43], v[14:15], v[8:9] op_sel:[0,0,1] op_sel_hi:[1,1,0]
	v_pk_fma_f32 v[8:9], v[42:43], v[14:15], v[8:9] op_sel:[0,0,1] op_sel_hi:[1,1,0] neg_lo:[0,0,1] neg_hi:[0,0,1]
	v_add_u32_e32 v4, 0x2000, v86
	v_mov_b32_e32 v13, v9
	v_pk_mul_f32 v[8:9], v[140:141], v[16:17]
	ds_read2_b64 v[64:67], v4 offset0:96 offset1:176
	v_pk_fma_f32 v[14:15], v[32:33], v[16:17], v[8:9] op_sel:[0,0,1] op_sel_hi:[1,1,0]
	v_pk_fma_f32 v[8:9], v[32:33], v[16:17], v[8:9] op_sel:[0,0,1] op_sel_hi:[1,1,0] neg_lo:[0,0,1] neg_hi:[0,0,1]
	v_mad_u64_u32 v[2:3], s[0:1], s6, v90, 0
	v_mov_b32_e32 v15, v9
	s_waitcnt lgkmcnt(4)
	v_pk_mul_f32 v[8:9], v[132:133], v[48:49]
	s_mov_b32 s0, 0x3f3504f3
	v_pk_fma_f32 v[16:17], v[34:35], v[48:49], v[8:9] op_sel:[0,0,1] op_sel_hi:[1,1,0]
	v_pk_fma_f32 v[8:9], v[34:35], v[48:49], v[8:9] op_sel:[0,0,1] op_sel_hi:[1,1,0] neg_lo:[0,0,1] neg_hi:[0,0,1]
	v_mov_b32_e32 v0, s2
	v_mov_b32_e32 v17, v9
	v_pk_mul_f32 v[8:9], v[138:139], v[50:51]
	s_mov_b32 s2, 0x3f6c835e
	v_pk_fma_f32 v[32:33], v[24:25], v[50:51], v[8:9] op_sel:[0,0,1] op_sel_hi:[1,1,0]
	v_pk_fma_f32 v[8:9], v[24:25], v[50:51], v[8:9] op_sel:[0,0,1] op_sel_hi:[1,1,0] neg_lo:[0,0,1] neg_hi:[0,0,1]
	s_mov_b32 s6, 0x3ec3ef15
	v_mov_b32_e32 v33, v9
	s_waitcnt lgkmcnt(3)
	v_pk_mul_f32 v[8:9], v[130:131], v[52:53]
	v_mov_b32_e32 v1, s3
	v_pk_fma_f32 v[24:25], v[26:27], v[52:53], v[8:9] op_sel:[0,0,1] op_sel_hi:[1,1,0]
	v_pk_fma_f32 v[8:9], v[26:27], v[52:53], v[8:9] op_sel:[0,0,1] op_sel_hi:[1,1,0] neg_lo:[0,0,1] neg_hi:[0,0,1]
	s_nop 0
	v_mov_b32_e32 v25, v9
	v_pk_mul_f32 v[8:9], v[154:155], v[54:55]
	s_nop 0
	v_pk_fma_f32 v[26:27], v[36:37], v[54:55], v[8:9] op_sel:[0,0,1] op_sel_hi:[1,1,0]
	v_pk_fma_f32 v[8:9], v[36:37], v[54:55], v[8:9] op_sel:[0,0,1] op_sel_hi:[1,1,0] neg_lo:[0,0,1] neg_hi:[0,0,1]
	s_nop 0
	v_mov_b32_e32 v27, v9
	s_waitcnt lgkmcnt(2)
	v_pk_mul_f32 v[8:9], v[128:129], v[56:57]
	v_pk_add_f32 v[26:27], v[68:69], v[26:27] neg_lo:[0,1] neg_hi:[0,1]
	v_pk_fma_f32 v[34:35], v[38:39], v[56:57], v[8:9] op_sel:[0,0,1] op_sel_hi:[1,1,0]
	v_pk_fma_f32 v[8:9], v[38:39], v[56:57], v[8:9] op_sel:[0,0,1] op_sel_hi:[1,1,0] neg_lo:[0,0,1] neg_hi:[0,0,1]
	s_nop 0
	v_mov_b32_e32 v35, v9
	v_pk_mul_f32 v[8:9], v[150:151], v[58:59]
	s_nop 0
	v_pk_fma_f32 v[36:37], v[28:29], v[58:59], v[8:9] op_sel:[0,0,1] op_sel_hi:[1,1,0]
	v_pk_fma_f32 v[8:9], v[28:29], v[58:59], v[8:9] op_sel:[0,0,1] op_sel_hi:[1,1,0] neg_lo:[0,0,1] neg_hi:[0,0,1]
	s_nop 0
	v_mov_b32_e32 v37, v9
	s_waitcnt lgkmcnt(1)
	v_pk_mul_f32 v[8:9], v[126:127], v[60:61]
	v_pk_add_f32 v[36:37], v[10:11], v[36:37] neg_lo:[0,1] neg_hi:[0,1]
	v_pk_fma_f32 v[28:29], v[30:31], v[60:61], v[8:9] op_sel:[0,0,1] op_sel_hi:[1,1,0]
	v_pk_fma_f32 v[8:9], v[30:31], v[60:61], v[8:9] op_sel:[0,0,1] op_sel_hi:[1,1,0] neg_lo:[0,0,1] neg_hi:[0,0,1]
	v_pk_fma_f32 v[10:11], v[10:11], 2.0, v[36:37] op_sel_hi:[1,0,1] neg_lo:[0,0,1] neg_hi:[0,0,1]
	v_mov_b32_e32 v29, v9
	v_pk_mul_f32 v[8:9], v[148:149], v[62:63]
	s_nop 0
	v_pk_fma_f32 v[30:31], v[20:21], v[62:63], v[8:9] op_sel:[0,0,1] op_sel_hi:[1,1,0]
	v_pk_fma_f32 v[8:9], v[20:21], v[62:63], v[8:9] op_sel:[0,0,1] op_sel_hi:[1,1,0] neg_lo:[0,0,1] neg_hi:[0,0,1]
	s_nop 0
	v_mov_b32_e32 v31, v9
	s_waitcnt lgkmcnt(0)
	v_pk_mul_f32 v[8:9], v[124:125], v[64:65]
	v_pk_add_f32 v[30:31], v[14:15], v[30:31] neg_lo:[0,1] neg_hi:[0,1]
	v_pk_fma_f32 v[20:21], v[22:23], v[64:65], v[8:9] op_sel:[0,0,1] op_sel_hi:[1,1,0]
	v_pk_fma_f32 v[8:9], v[22:23], v[64:65], v[8:9] op_sel:[0,0,1] op_sel_hi:[1,1,0] neg_lo:[0,0,1] neg_hi:[0,0,1]
	v_pk_fma_f32 v[14:15], v[14:15], 2.0, v[30:31] op_sel_hi:[1,0,1] neg_lo:[0,0,1] neg_hi:[0,0,1]
	v_mov_b32_e32 v21, v9
	v_pk_mul_f32 v[8:9], v[120:121], v[66:67]
	v_pk_add_f32 v[20:21], v[16:17], v[20:21] neg_lo:[0,1] neg_hi:[0,1]
	v_pk_fma_f32 v[22:23], v[160:161], v[66:67], v[8:9] op_sel:[0,0,1] op_sel_hi:[1,1,0]
	v_pk_fma_f32 v[8:9], v[160:161], v[66:67], v[8:9] op_sel:[0,0,1] op_sel_hi:[1,1,0] neg_lo:[0,0,1] neg_hi:[0,0,1]
	v_pk_fma_f32 v[16:17], v[16:17], 2.0, v[20:21] op_sel_hi:[1,0,1] neg_lo:[0,0,1] neg_hi:[0,0,1]
	v_mov_b32_e32 v23, v9
	v_pk_add_f32 v[8:9], v[6:7], v[24:25] neg_lo:[0,1] neg_hi:[0,1]
	v_pk_add_f32 v[24:25], v[12:13], v[28:29] neg_lo:[0,1] neg_hi:[0,1]
	;; [unrolled: 1-line block ×3, first 2 shown]
	v_pk_fma_f32 v[12:13], v[12:13], 2.0, v[24:25] op_sel_hi:[1,0,1] neg_lo:[0,0,1] neg_hi:[0,0,1]
	v_pk_add_f32 v[38:39], v[8:9], v[24:25] op_sel:[0,1] op_sel_hi:[1,0]
	v_pk_add_f32 v[24:25], v[8:9], v[24:25] op_sel:[0,1] op_sel_hi:[1,0] neg_lo:[0,1] neg_hi:[0,1]
	v_pk_fma_f32 v[18:19], v[18:19], 2.0, v[28:29] op_sel_hi:[1,0,1] neg_lo:[0,0,1] neg_hi:[0,0,1]
	v_mov_b32_e32 v39, v25
	v_pk_add_f32 v[24:25], v[28:29], v[20:21] op_sel:[0,1] op_sel_hi:[1,0]
	v_pk_add_f32 v[20:21], v[28:29], v[20:21] op_sel:[0,1] op_sel_hi:[1,0] neg_lo:[0,1] neg_hi:[0,1]
	v_pk_add_f32 v[22:23], v[32:33], v[22:23] neg_lo:[0,1] neg_hi:[0,1]
	v_mov_b32_e32 v25, v21
	v_pk_fma_f32 v[20:21], v[28:29], 2.0, v[24:25] op_sel_hi:[1,0,1] neg_lo:[0,0,1] neg_hi:[0,0,1]
	v_pk_add_f32 v[28:29], v[26:27], v[30:31] op_sel:[0,1] op_sel_hi:[1,0]
	v_pk_add_f32 v[30:31], v[26:27], v[30:31] op_sel:[0,1] op_sel_hi:[1,0] neg_lo:[0,1] neg_hi:[0,1]
	v_pk_fma_f32 v[32:33], v[32:33], 2.0, v[22:23] op_sel_hi:[1,0,1] neg_lo:[0,0,1] neg_hi:[0,0,1]
	v_mov_b32_e32 v29, v31
	v_pk_add_f32 v[30:31], v[36:37], v[22:23] op_sel:[0,1] op_sel_hi:[1,0]
	v_pk_add_f32 v[22:23], v[36:37], v[22:23] op_sel:[0,1] op_sel_hi:[1,0] neg_lo:[0,1] neg_hi:[0,1]
	v_pk_fma_f32 v[6:7], v[6:7], 2.0, v[8:9] op_sel_hi:[1,0,1] neg_lo:[0,0,1] neg_hi:[0,0,1]
	v_pk_fma_f32 v[8:9], v[8:9], 2.0, v[38:39] op_sel_hi:[1,0,1] neg_lo:[0,0,1] neg_hi:[0,0,1]
	v_mov_b32_e32 v31, v23
	v_pk_fma_f32 v[34:35], v[68:69], 2.0, v[26:27] op_sel_hi:[1,0,1] neg_lo:[0,0,1] neg_hi:[0,0,1]
	v_pk_fma_f32 v[26:27], v[26:27], 2.0, v[28:29] op_sel_hi:[1,0,1] neg_lo:[0,0,1] neg_hi:[0,0,1]
	;; [unrolled: 1-line block ×3, first 2 shown]
	v_pk_mul_f32 v[36:37], v[20:21], s[0:1] op_sel_hi:[1,0]
	v_pk_fma_f32 v[20:21], v[20:21], s[0:1], v[8:9] op_sel_hi:[1,0,1] neg_lo:[1,0,0] neg_hi:[1,0,0]
	v_pk_add_f32 v[12:13], v[6:7], v[12:13] neg_lo:[0,1] neg_hi:[0,1]
	v_pk_add_f32 v[40:41], v[20:21], v[36:37] op_sel:[0,1] op_sel_hi:[1,0]
	v_pk_add_f32 v[20:21], v[20:21], v[36:37] op_sel:[0,1] op_sel_hi:[1,0] neg_lo:[0,1] neg_hi:[0,1]
	v_pk_mul_f32 v[36:37], v[22:23], s[0:1] op_sel_hi:[1,0]
	v_pk_fma_f32 v[22:23], v[22:23], s[0:1], v[26:27] op_sel_hi:[1,0,1] neg_lo:[1,0,0] neg_hi:[1,0,0]
	v_pk_add_f32 v[16:17], v[18:19], v[16:17] neg_lo:[0,1] neg_hi:[0,1]
	v_pk_add_f32 v[42:43], v[22:23], v[36:37] op_sel:[0,1] op_sel_hi:[1,0]
	v_pk_add_f32 v[22:23], v[22:23], v[36:37] op_sel:[0,1] op_sel_hi:[1,0] neg_lo:[0,1] neg_hi:[0,1]
	v_pk_add_f32 v[14:15], v[34:35], v[14:15] neg_lo:[0,1] neg_hi:[0,1]
	v_pk_add_f32 v[32:33], v[10:11], v[32:33] neg_lo:[0,1] neg_hi:[0,1]
	v_mov_b32_e32 v41, v21
	v_mov_b32_e32 v43, v23
	v_pk_fma_f32 v[6:7], v[6:7], 2.0, v[12:13] op_sel_hi:[1,0,1] neg_lo:[0,0,1] neg_hi:[0,0,1]
	v_pk_fma_f32 v[18:19], v[18:19], 2.0, v[16:17] op_sel_hi:[1,0,1] neg_lo:[0,0,1] neg_hi:[0,0,1]
	;; [unrolled: 1-line block ×6, first 2 shown]
	v_pk_add_f32 v[18:19], v[6:7], v[18:19] neg_lo:[0,1] neg_hi:[0,1]
	v_pk_add_f32 v[10:11], v[34:35], v[10:11] neg_lo:[0,1] neg_hi:[0,1]
	v_pk_fma_f32 v[36:37], v[26:27], s[2:3], v[8:9] op_sel_hi:[1,0,1] neg_lo:[1,0,0] neg_hi:[1,0,0]
	v_pk_mul_f32 v[26:27], v[26:27], s[6:7] op_sel_hi:[1,0]
	v_pk_fma_f32 v[6:7], v[6:7], 2.0, v[18:19] op_sel_hi:[1,0,1] neg_lo:[0,0,1] neg_hi:[0,0,1]
	v_pk_fma_f32 v[34:35], v[34:35], 2.0, v[10:11] op_sel_hi:[1,0,1] neg_lo:[0,0,1] neg_hi:[0,0,1]
	v_pk_add_f32 v[44:45], v[36:37], v[26:27] op_sel:[0,1] op_sel_hi:[1,0]
	v_pk_add_f32 v[26:27], v[36:37], v[26:27] op_sel:[0,1] op_sel_hi:[1,0] neg_lo:[0,1] neg_hi:[0,1]
	v_pk_add_f32 v[34:35], v[6:7], v[34:35] neg_lo:[0,1] neg_hi:[0,1]
	v_mov_b32_e32 v45, v27
	v_pk_fma_f32 v[6:7], v[6:7], 2.0, v[34:35] op_sel_hi:[1,0,1] neg_lo:[0,0,1] neg_hi:[0,0,1]
	v_pk_fma_f32 v[8:9], v[8:9], 2.0, v[44:45] op_sel_hi:[1,0,1] neg_lo:[0,0,1] neg_hi:[0,0,1]
	ds_write2_b64 v86, v[6:7], v[8:9] offset1:80
	v_pk_add_f32 v[6:7], v[12:13], v[16:17] op_sel:[0,1] op_sel_hi:[1,0]
	v_pk_add_f32 v[8:9], v[12:13], v[16:17] op_sel:[0,1] op_sel_hi:[1,0] neg_lo:[0,1] neg_hi:[0,1]
	v_pk_add_f32 v[16:17], v[14:15], v[32:33] op_sel:[0,1] op_sel_hi:[1,0] neg_lo:[0,1] neg_hi:[0,1]
	v_mov_b32_e32 v7, v9
	v_pk_fma_f32 v[8:9], v[12:13], 2.0, v[6:7] op_sel_hi:[1,0,1] neg_lo:[0,0,1] neg_hi:[0,0,1]
	v_pk_add_f32 v[12:13], v[14:15], v[32:33] op_sel:[0,1] op_sel_hi:[1,0]
	v_pk_mul_f32 v[32:33], v[30:31], s[0:1] op_sel_hi:[1,0]
	v_mov_b32_e32 v13, v17
	v_pk_fma_f32 v[14:15], v[14:15], 2.0, v[12:13] op_sel_hi:[1,0,1] neg_lo:[0,0,1] neg_hi:[0,0,1]
	v_pk_fma_f32 v[30:31], v[30:31], s[0:1], v[28:29] op_sel_hi:[1,0,1]
	v_pk_mul_f32 v[16:17], v[14:15], s[0:1] op_sel_hi:[1,0]
	v_pk_fma_f32 v[14:15], v[14:15], s[0:1], v[8:9] op_sel_hi:[1,0,1] neg_lo:[1,0,0] neg_hi:[1,0,0]
	v_pk_add_f32 v[36:37], v[30:31], v[32:33] op_sel:[0,1] op_sel_hi:[1,0]
	v_pk_add_f32 v[26:27], v[14:15], v[16:17] op_sel:[0,1] op_sel_hi:[1,0]
	v_pk_add_f32 v[14:15], v[14:15], v[16:17] op_sel:[0,1] op_sel_hi:[1,0] neg_lo:[0,1] neg_hi:[0,1]
	v_pk_fma_f32 v[16:17], v[24:25], s[0:1], v[38:39] op_sel_hi:[1,0,1]
	v_mov_b32_e32 v27, v15
	v_pk_mul_f32 v[14:15], v[24:25], s[0:1] op_sel_hi:[1,0]
	v_pk_add_f32 v[30:31], v[30:31], v[32:33] op_sel:[0,1] op_sel_hi:[1,0] neg_lo:[0,1] neg_hi:[0,1]
	v_pk_add_f32 v[24:25], v[16:17], v[14:15] op_sel:[0,1] op_sel_hi:[1,0]
	v_pk_add_f32 v[14:15], v[16:17], v[14:15] op_sel:[0,1] op_sel_hi:[1,0] neg_lo:[0,1] neg_hi:[0,1]
	v_mov_b32_e32 v37, v31
	v_mov_b32_e32 v25, v15
	v_pk_fma_f32 v[16:17], v[38:39], 2.0, v[24:25] op_sel_hi:[1,0,1] neg_lo:[0,0,1] neg_hi:[0,0,1]
	v_pk_fma_f32 v[28:29], v[28:29], 2.0, v[36:37] op_sel_hi:[1,0,1] neg_lo:[0,0,1] neg_hi:[0,0,1]
	;; [unrolled: 1-line block ×3, first 2 shown]
	v_pk_fma_f32 v[32:33], v[28:29], s[6:7], v[16:17] op_sel_hi:[1,0,1] neg_lo:[1,0,0] neg_hi:[1,0,0]
	v_pk_mul_f32 v[28:29], v[28:29], s[2:3] op_sel_hi:[1,0]
	v_fmamk_f32 v22, v42, 0x3ec3ef15, v40
	v_pk_add_f32 v[38:39], v[32:33], v[28:29] op_sel:[0,1] op_sel_hi:[1,0]
	v_pk_add_f32 v[28:29], v[32:33], v[28:29] op_sel:[0,1] op_sel_hi:[1,0] neg_lo:[0,1] neg_hi:[0,1]
	v_fmamk_f32 v20, v23, 0x3ec3ef15, v21
	v_mov_b32_e32 v39, v29
	v_pk_fma_f32 v[16:17], v[16:17], 2.0, v[38:39] op_sel_hi:[1,0,1] neg_lo:[0,0,1] neg_hi:[0,0,1]
	ds_write2_b64 v86, v[8:9], v[16:17] offset0:160 offset1:240
	v_pk_add_f32 v[8:9], v[18:19], v[10:11] op_sel:[0,1] op_sel_hi:[1,0]
	v_pk_add_f32 v[10:11], v[18:19], v[10:11] op_sel:[0,1] op_sel_hi:[1,0] neg_lo:[0,1] neg_hi:[0,1]
	v_fmac_f32_e32 v22, 0x3f6c835e, v23
	v_fmamk_f32 v23, v42, 0xbf6c835e, v20
	v_mov_b32_e32 v9, v11
	v_fma_f32 v20, v40, 2.0, -v22
	v_fma_f32 v21, v21, 2.0, -v23
	v_pk_fma_f32 v[10:11], v[18:19], 2.0, v[8:9] op_sel_hi:[1,0,1] neg_lo:[0,0,1] neg_hi:[0,0,1]
	ds_write2_b64 v5, v[10:11], v[20:21] offset0:64 offset1:144
	v_pk_mul_f32 v[10:11], v[12:13], s[0:1] op_sel_hi:[1,0]
	v_pk_fma_f32 v[12:13], v[12:13], s[0:1], v[6:7] op_sel_hi:[1,0,1]
	v_fmamk_f32 v28, v36, 0x3f6c835e, v24
	v_fmamk_f32 v14, v31, 0x3f6c835e, v15
	v_pk_add_f32 v[16:17], v[12:13], v[10:11] op_sel:[0,1] op_sel_hi:[1,0]
	v_pk_add_f32 v[10:11], v[12:13], v[10:11] op_sel:[0,1] op_sel_hi:[1,0] neg_lo:[0,1] neg_hi:[0,1]
	v_fmac_f32_e32 v28, 0x3ec3ef15, v31
	v_fmamk_f32 v29, v36, 0xbec3ef15, v14
	v_mov_b32_e32 v17, v11
	v_fma_f32 v14, v24, 2.0, -v28
	v_fma_f32 v15, v15, 2.0, -v29
	v_pk_fma_f32 v[6:7], v[6:7], 2.0, v[16:17] op_sel_hi:[1,0,1] neg_lo:[0,0,1] neg_hi:[0,0,1]
	ds_write2_b64 v70, v[6:7], v[14:15] offset0:96 offset1:176
	ds_write2_b64 v71, v[34:35], v[44:45] offset0:128 offset1:208
	ds_write2_b64 v72, v[26:27], v[38:39] offset0:32 offset1:112
	ds_write2_b64 v73, v[8:9], v[22:23] offset0:64 offset1:144
	ds_write2_b64 v4, v[16:17], v[28:29] offset0:96 offset1:176
	s_waitcnt lgkmcnt(0)
	s_barrier
	ds_read2_b64 v[6:9], v86 offset1:80
	v_mov_b32_e32 v10, v3
	v_mad_u64_u32 v[10:11], s[0:1], s7, v90, v[10:11]
	v_mov_b32_e32 v3, v10
	s_waitcnt lgkmcnt(0)
	v_mul_f32_e32 v10, v115, v7
	v_fmac_f32_e32 v10, v114, v6
	v_mul_f32_e32 v6, v115, v6
	s_mov_b32 s0, 0x9999999a
	v_fma_f32 v6, v114, v7, -v6
	v_cvt_f64_f32_e32 v[10:11], v10
	s_mov_b32 s1, 0x3f499999
	v_cvt_f64_f32_e32 v[6:7], v6
	v_mul_f64 v[10:11], v[10:11], s[0:1]
	v_mul_f64 v[6:7], v[6:7], s[0:1]
	v_cvt_f32_f64_e32 v10, v[10:11]
	v_cvt_f32_f64_e32 v11, v[6:7]
	v_mad_u64_u32 v[6:7], s[2:3], s4, v94, 0
	v_mov_b32_e32 v12, v7
	v_mad_u64_u32 v[12:13], s[2:3], s5, v94, v[12:13]
	v_mov_b32_e32 v7, v12
	v_lshl_add_u64 v[12:13], v[2:3], 3, v[0:1]
	v_mul_f32_e32 v0, v113, v9
	v_fmac_f32_e32 v0, v112, v8
	v_cvt_f64_f32_e32 v[0:1], v0
	v_lshl_add_u64 v[6:7], v[6:7], 3, v[12:13]
	v_mul_f64 v[0:1], v[0:1], s[0:1]
	global_store_dwordx2 v[6:7], v[10:11], off
	v_cvt_f32_f64_e32 v10, v[0:1]
	v_mul_f32_e32 v0, v113, v8
	v_fma_f32 v0, v112, v9, -v0
	v_cvt_f64_f32_e32 v[0:1], v0
	v_mul_f64 v[0:1], v[0:1], s[0:1]
	v_cvt_f32_f64_e32 v11, v[0:1]
	ds_read2_b64 v[0:3], v86 offset0:160 offset1:240
	v_mov_b32_e32 v14, 0x280
	v_mad_u64_u32 v[6:7], s[2:3], s4, v14, v[6:7]
	s_mul_i32 s2, s5, 0x280
	s_waitcnt lgkmcnt(0)
	v_mul_f32_e32 v8, v109, v1
	v_fmac_f32_e32 v8, v108, v0
	v_mul_f32_e32 v0, v109, v0
	v_fma_f32 v0, v108, v1, -v0
	v_cvt_f64_f32_e32 v[8:9], v8
	v_cvt_f64_f32_e32 v[0:1], v0
	v_mul_f64 v[8:9], v[8:9], s[0:1]
	v_mul_f64 v[0:1], v[0:1], s[0:1]
	v_cvt_f32_f64_e32 v8, v[8:9]
	v_cvt_f32_f64_e32 v9, v[0:1]
	v_mul_f32_e32 v0, v99, v3
	v_add_u32_e32 v7, s2, v7
	v_fmac_f32_e32 v0, v98, v2
	global_store_dwordx2 v[6:7], v[10:11], off
	v_mad_u64_u32 v[6:7], s[6:7], s4, v14, v[6:7]
	v_cvt_f64_f32_e32 v[0:1], v0
	v_add_u32_e32 v7, s2, v7
	v_mul_f64 v[0:1], v[0:1], s[0:1]
	global_store_dwordx2 v[6:7], v[8:9], off
	v_cvt_f32_f64_e32 v8, v[0:1]
	v_mul_f32_e32 v0, v99, v2
	v_fma_f32 v0, v98, v3, -v0
	v_cvt_f64_f32_e32 v[0:1], v0
	v_mul_f64 v[0:1], v[0:1], s[0:1]
	v_cvt_f32_f64_e32 v9, v[0:1]
	ds_read2_b64 v[0:3], v5 offset0:64 offset1:144
	v_mad_u64_u32 v[6:7], s[6:7], s4, v14, v[6:7]
	v_add_u32_e32 v7, s2, v7
	global_store_dwordx2 v[6:7], v[8:9], off
	s_waitcnt lgkmcnt(0)
	v_mul_f32_e32 v5, v111, v1
	v_fmac_f32_e32 v5, v110, v0
	v_mul_f32_e32 v0, v111, v0
	v_fma_f32 v0, v110, v1, -v0
	v_cvt_f64_f32_e32 v[8:9], v5
	v_cvt_f64_f32_e32 v[0:1], v0
	v_mul_f64 v[8:9], v[8:9], s[0:1]
	v_mul_f64 v[0:1], v[0:1], s[0:1]
	v_cvt_f32_f64_e32 v8, v[8:9]
	v_cvt_f32_f64_e32 v9, v[0:1]
	v_mul_f32_e32 v0, v105, v3
	v_fmac_f32_e32 v0, v104, v2
	v_mad_u64_u32 v[6:7], s[6:7], s4, v14, v[6:7]
	v_cvt_f64_f32_e32 v[0:1], v0
	v_add_u32_e32 v7, s2, v7
	v_mul_f64 v[0:1], v[0:1], s[0:1]
	global_store_dwordx2 v[6:7], v[8:9], off
	v_cvt_f32_f64_e32 v8, v[0:1]
	v_mul_f32_e32 v0, v105, v2
	v_fma_f32 v0, v104, v3, -v0
	v_cvt_f64_f32_e32 v[0:1], v0
	v_mul_f64 v[0:1], v[0:1], s[0:1]
	v_cvt_f32_f64_e32 v9, v[0:1]
	ds_read2_b64 v[0:3], v70 offset0:96 offset1:176
	v_mad_u64_u32 v[6:7], s[6:7], s4, v14, v[6:7]
	v_add_u32_e32 v7, s2, v7
	global_store_dwordx2 v[6:7], v[8:9], off
	s_waitcnt lgkmcnt(0)
	v_mul_f32_e32 v5, v89, v1
	v_fmac_f32_e32 v5, v88, v0
	v_mul_f32_e32 v0, v89, v0
	v_fma_f32 v0, v88, v1, -v0
	v_cvt_f64_f32_e32 v[8:9], v5
	v_cvt_f64_f32_e32 v[0:1], v0
	v_mul_f64 v[8:9], v[8:9], s[0:1]
	v_mul_f64 v[0:1], v[0:1], s[0:1]
	v_cvt_f32_f64_e32 v8, v[8:9]
	v_cvt_f32_f64_e32 v9, v[0:1]
	v_mul_f32_e32 v0, v97, v3
	v_fmac_f32_e32 v0, v96, v2
	v_mad_u64_u32 v[6:7], s[6:7], s4, v14, v[6:7]
	v_cvt_f64_f32_e32 v[0:1], v0
	v_add_u32_e32 v7, s2, v7
	v_mul_f64 v[0:1], v[0:1], s[0:1]
	global_store_dwordx2 v[6:7], v[8:9], off
	v_cvt_f32_f64_e32 v8, v[0:1]
	v_mul_f32_e32 v0, v97, v2
	v_fma_f32 v0, v96, v3, -v0
	v_cvt_f64_f32_e32 v[0:1], v0
	v_mul_f64 v[0:1], v[0:1], s[0:1]
	v_cvt_f32_f64_e32 v9, v[0:1]
	ds_read2_b64 v[0:3], v71 offset0:128 offset1:208
	v_mad_u64_u32 v[6:7], s[6:7], s4, v14, v[6:7]
	v_add_u32_e32 v7, s2, v7
	global_store_dwordx2 v[6:7], v[8:9], off
	s_waitcnt lgkmcnt(0)
	v_mul_f32_e32 v5, v117, v1
	v_fmac_f32_e32 v5, v116, v0
	v_mul_f32_e32 v0, v117, v0
	v_fma_f32 v0, v116, v1, -v0
	v_cvt_f64_f32_e32 v[8:9], v5
	v_cvt_f64_f32_e32 v[0:1], v0
	v_mul_f64 v[8:9], v[8:9], s[0:1]
	v_mul_f64 v[0:1], v[0:1], s[0:1]
	v_cvt_f32_f64_e32 v8, v[8:9]
	v_cvt_f32_f64_e32 v9, v[0:1]
	v_mad_u64_u32 v[0:1], s[6:7], s4, v87, 0
	v_mov_b32_e32 v10, v1
	v_mad_u64_u32 v[10:11], s[6:7], s5, v87, v[10:11]
	v_mov_b32_e32 v1, v10
	v_lshl_add_u64 v[0:1], v[0:1], 3, v[12:13]
	global_store_dwordx2 v[0:1], v[8:9], off
	v_mul_f32_e32 v0, v85, v3
	v_fmac_f32_e32 v0, v84, v2
	v_cvt_f64_f32_e32 v[0:1], v0
	v_mul_f64 v[0:1], v[0:1], s[0:1]
	v_cvt_f32_f64_e32 v8, v[0:1]
	v_mul_f32_e32 v0, v85, v2
	v_fma_f32 v0, v84, v3, -v0
	v_cvt_f64_f32_e32 v[0:1], v0
	v_mul_f64 v[0:1], v[0:1], s[0:1]
	v_cvt_f32_f64_e32 v9, v[0:1]
	ds_read2_b64 v[0:3], v72 offset0:32 offset1:112
	v_mov_b32_e32 v5, 0x500
	v_mad_u64_u32 v[6:7], s[6:7], s4, v5, v[6:7]
	s_mul_i32 s3, s5, 0x500
	s_waitcnt lgkmcnt(0)
	v_mul_f32_e32 v5, v83, v1
	v_fmac_f32_e32 v5, v82, v0
	v_mul_f32_e32 v0, v83, v0
	v_add_u32_e32 v7, s3, v7
	v_fma_f32 v0, v82, v1, -v0
	global_store_dwordx2 v[6:7], v[8:9], off
	v_cvt_f64_f32_e32 v[8:9], v5
	v_cvt_f64_f32_e32 v[0:1], v0
	v_mul_f64 v[8:9], v[8:9], s[0:1]
	v_mul_f64 v[0:1], v[0:1], s[0:1]
	v_cvt_f32_f64_e32 v8, v[8:9]
	v_cvt_f32_f64_e32 v9, v[0:1]
	v_mul_f32_e32 v0, v81, v3
	v_fmac_f32_e32 v0, v80, v2
	v_mad_u64_u32 v[6:7], s[6:7], s4, v14, v[6:7]
	v_cvt_f64_f32_e32 v[0:1], v0
	v_add_u32_e32 v7, s2, v7
	v_mul_f64 v[0:1], v[0:1], s[0:1]
	global_store_dwordx2 v[6:7], v[8:9], off
	v_cvt_f32_f64_e32 v8, v[0:1]
	v_mul_f32_e32 v0, v81, v2
	v_fma_f32 v0, v80, v3, -v0
	v_cvt_f64_f32_e32 v[0:1], v0
	v_mul_f64 v[0:1], v[0:1], s[0:1]
	v_cvt_f32_f64_e32 v9, v[0:1]
	ds_read2_b64 v[0:3], v73 offset0:64 offset1:144
	v_mad_u64_u32 v[6:7], s[6:7], s4, v14, v[6:7]
	v_add_u32_e32 v7, s2, v7
	global_store_dwordx2 v[6:7], v[8:9], off
	s_waitcnt lgkmcnt(0)
	v_mul_f32_e32 v5, v103, v1
	v_fmac_f32_e32 v5, v102, v0
	v_mul_f32_e32 v0, v103, v0
	v_fma_f32 v0, v102, v1, -v0
	v_cvt_f64_f32_e32 v[8:9], v5
	v_cvt_f64_f32_e32 v[0:1], v0
	v_mul_f64 v[8:9], v[8:9], s[0:1]
	v_mul_f64 v[0:1], v[0:1], s[0:1]
	v_cvt_f32_f64_e32 v8, v[8:9]
	v_cvt_f32_f64_e32 v9, v[0:1]
	v_mul_f32_e32 v0, v107, v3
	v_fmac_f32_e32 v0, v106, v2
	v_mad_u64_u32 v[6:7], s[6:7], s4, v14, v[6:7]
	v_cvt_f64_f32_e32 v[0:1], v0
	v_add_u32_e32 v7, s2, v7
	v_mul_f64 v[0:1], v[0:1], s[0:1]
	global_store_dwordx2 v[6:7], v[8:9], off
	v_cvt_f32_f64_e32 v8, v[0:1]
	v_mul_f32_e32 v0, v107, v2
	v_fma_f32 v0, v106, v3, -v0
	v_cvt_f64_f32_e32 v[0:1], v0
	v_mul_f64 v[0:1], v[0:1], s[0:1]
	v_cvt_f32_f64_e32 v9, v[0:1]
	ds_read2_b64 v[0:3], v4 offset0:96 offset1:176
	v_mad_u64_u32 v[4:5], s[6:7], s4, v14, v[6:7]
	v_add_u32_e32 v5, s2, v5
	global_store_dwordx2 v[4:5], v[8:9], off
	s_waitcnt lgkmcnt(0)
	v_mul_f32_e32 v6, v101, v1
	v_fmac_f32_e32 v6, v100, v0
	v_mul_f32_e32 v0, v101, v0
	v_fma_f32 v0, v100, v1, -v0
	v_cvt_f64_f32_e32 v[6:7], v6
	v_cvt_f64_f32_e32 v[0:1], v0
	v_mul_f64 v[6:7], v[6:7], s[0:1]
	v_mul_f64 v[0:1], v[0:1], s[0:1]
	v_cvt_f32_f64_e32 v6, v[6:7]
	v_cvt_f32_f64_e32 v7, v[0:1]
	v_mad_u64_u32 v[0:1], s[6:7], s4, v14, v[4:5]
	v_mul_f32_e32 v4, v93, v3
	v_fmac_f32_e32 v4, v92, v2
	v_mul_f32_e32 v2, v93, v2
	v_fma_f32 v2, v92, v3, -v2
	v_add_u32_e32 v1, s2, v1
	v_cvt_f64_f32_e32 v[4:5], v4
	v_cvt_f64_f32_e32 v[2:3], v2
	global_store_dwordx2 v[0:1], v[6:7], off
	v_mul_f64 v[4:5], v[4:5], s[0:1]
	v_mul_f64 v[2:3], v[2:3], s[0:1]
	v_mad_u64_u32 v[0:1], s[0:1], s4, v14, v[0:1]
	v_cvt_f32_f64_e32 v4, v[4:5]
	v_cvt_f32_f64_e32 v5, v[2:3]
	v_add_u32_e32 v1, s2, v1
	global_store_dwordx2 v[0:1], v[4:5], off
.LBB0_10:
	s_endpgm
	.section	.rodata,"a",@progbits
	.p2align	6, 0x0
	.amdhsa_kernel bluestein_single_fwd_len1280_dim1_sp_op_CI_CI
		.amdhsa_group_segment_fixed_size 10240
		.amdhsa_private_segment_fixed_size 0
		.amdhsa_kernarg_size 104
		.amdhsa_user_sgpr_count 2
		.amdhsa_user_sgpr_dispatch_ptr 0
		.amdhsa_user_sgpr_queue_ptr 0
		.amdhsa_user_sgpr_kernarg_segment_ptr 1
		.amdhsa_user_sgpr_dispatch_id 0
		.amdhsa_user_sgpr_kernarg_preload_length 0
		.amdhsa_user_sgpr_kernarg_preload_offset 0
		.amdhsa_user_sgpr_private_segment_size 0
		.amdhsa_uses_dynamic_stack 0
		.amdhsa_enable_private_segment 0
		.amdhsa_system_sgpr_workgroup_id_x 1
		.amdhsa_system_sgpr_workgroup_id_y 0
		.amdhsa_system_sgpr_workgroup_id_z 0
		.amdhsa_system_sgpr_workgroup_info 0
		.amdhsa_system_vgpr_workitem_id 0
		.amdhsa_next_free_vgpr 190
		.amdhsa_next_free_sgpr 16
		.amdhsa_accum_offset 192
		.amdhsa_reserve_vcc 1
		.amdhsa_float_round_mode_32 0
		.amdhsa_float_round_mode_16_64 0
		.amdhsa_float_denorm_mode_32 3
		.amdhsa_float_denorm_mode_16_64 3
		.amdhsa_dx10_clamp 1
		.amdhsa_ieee_mode 1
		.amdhsa_fp16_overflow 0
		.amdhsa_tg_split 0
		.amdhsa_exception_fp_ieee_invalid_op 0
		.amdhsa_exception_fp_denorm_src 0
		.amdhsa_exception_fp_ieee_div_zero 0
		.amdhsa_exception_fp_ieee_overflow 0
		.amdhsa_exception_fp_ieee_underflow 0
		.amdhsa_exception_fp_ieee_inexact 0
		.amdhsa_exception_int_div_zero 0
	.end_amdhsa_kernel
	.text
.Lfunc_end0:
	.size	bluestein_single_fwd_len1280_dim1_sp_op_CI_CI, .Lfunc_end0-bluestein_single_fwd_len1280_dim1_sp_op_CI_CI
                                        ; -- End function
	.section	.AMDGPU.csdata,"",@progbits
; Kernel info:
; codeLenInByte = 12944
; NumSgprs: 22
; NumVgprs: 190
; NumAgprs: 0
; TotalNumVgprs: 190
; ScratchSize: 0
; MemoryBound: 0
; FloatMode: 240
; IeeeMode: 1
; LDSByteSize: 10240 bytes/workgroup (compile time only)
; SGPRBlocks: 2
; VGPRBlocks: 23
; NumSGPRsForWavesPerEU: 22
; NumVGPRsForWavesPerEU: 190
; AccumOffset: 192
; Occupancy: 2
; WaveLimiterHint : 1
; COMPUTE_PGM_RSRC2:SCRATCH_EN: 0
; COMPUTE_PGM_RSRC2:USER_SGPR: 2
; COMPUTE_PGM_RSRC2:TRAP_HANDLER: 0
; COMPUTE_PGM_RSRC2:TGID_X_EN: 1
; COMPUTE_PGM_RSRC2:TGID_Y_EN: 0
; COMPUTE_PGM_RSRC2:TGID_Z_EN: 0
; COMPUTE_PGM_RSRC2:TIDIG_COMP_CNT: 0
; COMPUTE_PGM_RSRC3_GFX90A:ACCUM_OFFSET: 47
; COMPUTE_PGM_RSRC3_GFX90A:TG_SPLIT: 0
	.text
	.p2alignl 6, 3212836864
	.fill 256, 4, 3212836864
	.type	__hip_cuid_3054d2eef2b544e3,@object ; @__hip_cuid_3054d2eef2b544e3
	.section	.bss,"aw",@nobits
	.globl	__hip_cuid_3054d2eef2b544e3
__hip_cuid_3054d2eef2b544e3:
	.byte	0                               ; 0x0
	.size	__hip_cuid_3054d2eef2b544e3, 1

	.ident	"AMD clang version 19.0.0git (https://github.com/RadeonOpenCompute/llvm-project roc-6.4.0 25133 c7fe45cf4b819c5991fe208aaa96edf142730f1d)"
	.section	".note.GNU-stack","",@progbits
	.addrsig
	.addrsig_sym __hip_cuid_3054d2eef2b544e3
	.amdgpu_metadata
---
amdhsa.kernels:
  - .agpr_count:     0
    .args:
      - .actual_access:  read_only
        .address_space:  global
        .offset:         0
        .size:           8
        .value_kind:     global_buffer
      - .actual_access:  read_only
        .address_space:  global
        .offset:         8
        .size:           8
        .value_kind:     global_buffer
      - .actual_access:  read_only
        .address_space:  global
        .offset:         16
        .size:           8
        .value_kind:     global_buffer
      - .actual_access:  read_only
        .address_space:  global
        .offset:         24
        .size:           8
        .value_kind:     global_buffer
      - .actual_access:  read_only
        .address_space:  global
        .offset:         32
        .size:           8
        .value_kind:     global_buffer
      - .offset:         40
        .size:           8
        .value_kind:     by_value
      - .address_space:  global
        .offset:         48
        .size:           8
        .value_kind:     global_buffer
      - .address_space:  global
        .offset:         56
        .size:           8
        .value_kind:     global_buffer
      - .address_space:  global
        .offset:         64
        .size:           8
        .value_kind:     global_buffer
      - .address_space:  global
        .offset:         72
        .size:           8
        .value_kind:     global_buffer
      - .offset:         80
        .size:           4
        .value_kind:     by_value
      - .address_space:  global
        .offset:         88
        .size:           8
        .value_kind:     global_buffer
      - .address_space:  global
        .offset:         96
        .size:           8
        .value_kind:     global_buffer
    .group_segment_fixed_size: 10240
    .kernarg_segment_align: 8
    .kernarg_segment_size: 104
    .language:       OpenCL C
    .language_version:
      - 2
      - 0
    .max_flat_workgroup_size: 80
    .name:           bluestein_single_fwd_len1280_dim1_sp_op_CI_CI
    .private_segment_fixed_size: 0
    .sgpr_count:     22
    .sgpr_spill_count: 0
    .symbol:         bluestein_single_fwd_len1280_dim1_sp_op_CI_CI.kd
    .uniform_work_group_size: 1
    .uses_dynamic_stack: false
    .vgpr_count:     190
    .vgpr_spill_count: 0
    .wavefront_size: 64
amdhsa.target:   amdgcn-amd-amdhsa--gfx950
amdhsa.version:
  - 1
  - 2
...

	.end_amdgpu_metadata
